;; amdgpu-corpus repo=ROCm/aiter kind=harvested arch=n/a opt=n/a

/root/src/amdgpu-assembly/repos/ROCm__aiter/hsa/gfx942/pa/pa_bf16_perblockFp8_blk1024_1tg_4w_qlen32_msk1_ps.co:	file format elf64-amdgpu

Disassembly of section .text:

0000000000002600 <_ZN5aiter45PA_A16W8_BLK1024_1TG_4W_32mx1_64nx4_MTP_PS_PBE>:
	s_and_b32 s1, s1, 0xffff                                   // 000000002600: 8601FF01 0000FFFF
	s_load_dwordx2 s[4:5], s[0:1], 0x0                         // 000000002608: C0060100 00000000
	s_load_dwordx2 s[8:9], s[0:1], 0x10                        // 000000002610: C0060200 00000010
	s_load_dwordx2 s[12:13], s[0:1], 0x20                      // 000000002618: C0060300 00000020
	s_load_dwordx2 s[16:17], s[0:1], 0x30                      // 000000002620: C0060400 00000030
	s_load_dwordx2 s[42:43], s[0:1], 0x40                      // 000000002628: C0060A80 00000040
	s_load_dwordx2 s[40:41], s[0:1], 0x50                      // 000000002630: C0060A00 00000050
	s_load_dwordx2 s[20:21], s[0:1], 0x60                      // 000000002638: C0060500 00000060
	s_load_dwordx2 s[24:25], s[0:1], 0x70                      // 000000002640: C0060600 00000070
	s_load_dword s46, s[0:1], 0x80                             // 000000002648: C0020B80 00000080
	s_load_dword s48, s[0:1], 0x90                             // 000000002650: C0020C00 00000090
	s_load_dword s49, s[0:1], 0xa0                             // 000000002658: C0020C40 000000A0
	s_load_dword s50, s[0:1], 0xb0                             // 000000002660: C0020C80 000000B0
	s_load_dword s51, s[0:1], 0xc0                             // 000000002668: C0020CC0 000000C0
	s_load_dword s52, s[0:1], 0xd0                             // 000000002670: C0020D00 000000D0
	s_load_dword s53, s[0:1], 0xe0                             // 000000002678: C0020D40 000000E0
	s_load_dwordx2 s[44:45], s[0:1], 0x100                     // 000000002680: C0060B00 00000100
	s_load_dwordx2 s[36:37], s[0:1], 0x110                     // 000000002688: C0060900 00000110
	s_load_dwordx2 s[38:39], s[0:1], 0x120                     // 000000002690: C0060980 00000120
	s_load_dwordx2 s[28:29], s[0:1], 0x130                     // 000000002698: C0060700 00000130
	s_load_dwordx2 s[32:33], s[0:1], 0x140                     // 0000000026A0: C0060800 00000140
	v_lshrrev_b32_e32 v1, 10, v0                               // 0000000026A8: 2002008A
	v_lshrrev_b32_e32 v2, 10, v1                               // 0000000026AC: 2004028A
	v_and_b32_e32 v2, 0x3ff, v2                                // 0000000026B0: 260404FF 000003FF
	v_and_b32_e32 v1, 0x3ff, v1                                // 0000000026B8: 260202FF 000003FF
	v_and_b32_e32 v0, 0x3ff, v0                                // 0000000026C0: 260000FF 000003FF
	v_lshrrev_b32_e32 v3, 6, v0                                // 0000000026C8: 20060086
	v_and_b32_e32 v0, 63, v0                                   // 0000000026CC: 260000BF
	s_mov_b32 s58, s2                                          // 0000000026D0: BEBA0002
	v_readfirstlane_b32 s57, v3                                // 0000000026D4: 7E720503
	s_mov_b32 s56, 0x7060302                                   // 0000000026D8: BEB800FF 07060302
	v_mov_b32_e32 v191, 0xffff0000                             // 0000000026E0: 7F7E02FF FFFF0000
	v_mov_b32_e32 v192, 0x7fff0000                             // 0000000026E8: 7F8002FF 7FFF0000
	v_mov_b32_e32 v193, 0x7fff                                 // 0000000026F0: 7F8202FF 00007FFF
	v_mov_b32_e32 v197, 0xff800000                             // 0000000026F8: 7F8A02FF FF800000
	s_waitcnt lgkmcnt(0)                                       // 000000002700: BF8CC07F
	s_lshl_b32 s54, s58, 2                                     // 000000002704: 8E36823A
	s_and_b32 s37, s37, 0xffff                                 // 000000002708: 8625FF25 0000FFFF
	s_load_dwordx2 s[80:81], s[36:37], s54                     // 000000002710: C0041412 00000036
	s_mul_i32 s54, s53, 0x100                                  // 000000002718: 9236FF35 00000100
	s_mul_i32 s67, s48, s54                                    // 000000002720: 92433630
	s_mul_i32 s66, s48, 4                                      // 000000002724: 92428430
	s_mov_b32 s47, s46                                         // 000000002728: BEAF002E
	s_mov_b32 s10, 0x80000000                                  // 00000000272C: BE8A00FF 80000000
	s_mov_b32 s11, 0x20000                                     // 000000002734: BE8B00FF 00020000
	s_and_b32 s9, s9, 0xffff                                   // 00000000273C: 8609FF09 0000FFFF
	s_or_b32 s9, s9, 0                                         // 000000002744: 87098009
	s_mov_b32 s84, s8                                          // 000000002748: BED40008
	s_mov_b32 s85, s9                                          // 00000000274C: BED50009
	s_mov_b32 s6, 0x80000000                                   // 000000002750: BE8600FF 80000000
	s_mov_b32 s7, 0x20000                                      // 000000002758: BE8700FF 00020000
	s_and_b32 s5, s5, 0xffff                                   // 000000002760: 8605FF05 0000FFFF
	s_or_b32 s5, s5, 0                                         // 000000002768: 87058005
	s_mov_b32 s82, s4                                          // 00000000276C: BED20004
	s_mov_b32 s83, s5                                          // 000000002770: BED30005
	s_mov_b32 s30, 0x80000000                                  // 000000002774: BE9E00FF 80000000
	s_mov_b32 s31, 0x20000                                     // 00000000277C: BE9F00FF 00020000
	s_and_b32 s29, s29, 0xffff                                 // 000000002784: 861DFF1D 0000FFFF
	s_or_b32 s29, s29, 0                                       // 00000000278C: 871D801D
	s_mov_b32 s94, s28                                         // 000000002790: BEDE001C
	s_mov_b32 s95, s29                                         // 000000002794: BEDF001D
	s_mov_b32 s34, 0x80000000                                  // 000000002798: BEA200FF 80000000
	s_mov_b32 s35, 0x20000                                     // 0000000027A0: BEA300FF 00020000
	s_and_b32 s33, s33, 0xffff                                 // 0000000027A8: 8621FF21 0000FFFF
	s_or_b32 s33, s33, 0                                       // 0000000027B0: 87218021
	s_mov_b32 s96, s32                                         // 0000000027B4: BEE00020
	s_mov_b32 s97, s33                                         // 0000000027B8: BEE10021
	s_mov_b32 s14, 0x80000000                                  // 0000000027BC: BE8E00FF 80000000
	s_mov_b32 s15, 0x20000                                     // 0000000027C4: BE8F00FF 00020000
	s_and_b32 s13, s13, 0xffff                                 // 0000000027CC: 860DFF0D 0000FFFF
	s_or_b32 s13, s13, 0                                       // 0000000027D4: 870D800D
	s_mul_i32 s55, s57, 0x100                                  // 0000000027D8: 9237FF39 00000100
	s_add_u32 s86, s12, s55                                    // 0000000027E0: 8056370C
	s_addc_u32 s87, s13, 0                                     // 0000000027E4: 8257800D
	s_mov_b32 s18, 0x80000000                                  // 0000000027E8: BE9200FF 80000000
	s_mov_b32 s19, 0x20000                                     // 0000000027F0: BE9300FF 00020000
	s_and_b32 s17, s17, 0xffff                                 // 0000000027F8: 8611FF11 0000FFFF
	s_or_b32 s17, s17, 0                                       // 000000002800: 87118011
	s_add_u32 s88, s16, s55                                    // 000000002804: 80583710
	s_addc_u32 s89, s17, 0                                     // 000000002808: 82598011
	s_mov_b32 s22, 0x80000000                                  // 00000000280C: BE9600FF 80000000
	s_mov_b32 s23, 0x20000                                     // 000000002814: BE9700FF 00020000
	s_and_b32 s21, s21, 0xffff                                 // 00000000281C: 8615FF15 0000FFFF
	s_or_b32 s21, s21, 0                                       // 000000002824: 87158015
	s_add_u32 s90, s20, 0                                      // 000000002828: 805A8014
	s_addc_u32 s91, s21, 0                                     // 00000000282C: 825B8015
	s_mov_b32 s26, 0x80000000                                  // 000000002830: BE9A00FF 80000000
	s_mov_b32 s27, 0x20000                                     // 000000002838: BE9B00FF 00020000
	s_and_b32 s25, s25, 0xffff                                 // 000000002840: 8619FF19 0000FFFF
	s_or_b32 s25, s25, 0                                       // 000000002848: 87198019
	s_add_u32 s92, s24, 0                                      // 00000000284C: 805C8018
	s_addc_u32 s93, s25, 0                                     // 000000002850: 825D8019
	s_and_b32 s39, s39, 0xffff                                 // 000000002854: 8627FF27 0000FFFF
	s_and_b32 s41, s41, 0xffff                                 // 00000000285C: 8629FF29 0000FFFF
	s_and_b32 s43, s43, 0xffff                                 // 000000002864: 862BFF2B 0000FFFF
	s_and_b32 s45, s45, 0xffff                                 // 00000000286C: 862DFF2D 0000FFFF
	v_and_b32_e32 v162, 15, v0                                 // 000000002874: 2744008F
	v_lshlrev_b32_e32 v162, 4, v162                            // 000000002878: 25454484
	s_lshl_b32 s54, s57, 2                                     // 00000000287C: 8E368239
	v_lshrrev_b32_e32 v154, 4, v0                              // 000000002880: 21340084
	v_add_u32_e32 v154, s54, v154                              // 000000002884: 69353436
	v_add_u32_e32 v155, 16, v154                               // 000000002888: 69373490
	v_cvt_f32_u32_e32 v186, s53                                // 00000000288C: 7F740C35
	v_sub_i32 v158, 0, s53                                     // 000000002890: D29D009E 00006A80
	v_rcp_iflag_f32_e32 v186, v186                             // 000000002898: 7F7447BA
	s_nop 0                                                    // 00000000289C: BF800000
	v_mul_f32_e32 v186, 0x4f7ffffe, v186                       // 0000000028A0: 0B7574FF 4F7FFFFE
	v_cvt_u32_f32_e32 v186, v186                               // 0000000028A8: 7F740FBA
	v_mul_lo_u32 v187, v158, v186                              // 0000000028AC: D28500BB 0003759E
	v_mul_hi_u32 v187, v186, v187                              // 0000000028B4: D28600BB 000377BA
	v_add_u32_e32 v186, v186, v187                             // 0000000028BC: 697577BA
	v_mul_hi_u32 v186, v154, v186                              // 0000000028C0: D28600BA 0003759A
	v_mul_lo_u32 v187, v186, s53                               // 0000000028C8: D28500BB 00006BBA
	v_sub_u32_e32 v189, v154, v187                             // 0000000028D0: 6B7B779A
	v_add_u32_e32 v188, 1, v186                                // 0000000028D4: 69797481
	v_cmp_le_u32_e32 vcc, s53, v189                            // 0000000028D8: 7D977A35
	v_subrev_u32_e32 v187, s53, v189                           // 0000000028DC: 6D777A35
	s_nop 0                                                    // 0000000028E0: BF800000
	v_cndmask_b32_e32 v186, v186, v188, vcc                    // 0000000028E4: 017579BA
	v_cndmask_b32_e32 v189, v189, v187, vcc                    // 0000000028E8: 017B77BD
	v_add_u32_e32 v187, 1, v186                                // 0000000028EC: 69777481
	v_cmp_le_u32_e32 vcc, s53, v189                            // 0000000028F0: 7D977A35
	s_nop 1                                                    // 0000000028F4: BF800001
	v_cndmask_b32_e32 v158, v186, v187, vcc                    // 0000000028F8: 013D77BA
	v_mul_i32_i24_e32 v188, s53, v158                          // 0000000028FC: 0D793C35
	v_sub_u32_e32 v188, v154, v188                             // 000000002900: 6B79799A
	v_mul_u32_u24_e32 v188, 0x100, v188                        // 000000002904: 117978FF 00000100
	v_mul_u32_u24_e32 v198, s49, v158                          // 00000000290C: 118D3C31
	v_add3_u32 v198, v188, v198, v162                          // 000000002910: D1FF00C6 068B8DBC
	v_mul_u32_u24_e32 v200, s67, v158                          // 000000002918: 11913C43
	v_add3_u32 v200, v188, v200, v162                          // 00000000291C: D1FF00C8 068B91BC
	v_cvt_f32_u32_e32 v186, s53                                // 000000002924: 7F740C35
	v_sub_i32 v158, 0, s53                                     // 000000002928: D29D009E 00006A80
	v_rcp_iflag_f32_e32 v186, v186                             // 000000002930: 7F7447BA
	s_nop 0                                                    // 000000002934: BF800000
	v_mul_f32_e32 v186, 0x4f7ffffe, v186                       // 000000002938: 0B7574FF 4F7FFFFE
	v_cvt_u32_f32_e32 v186, v186                               // 000000002940: 7F740FBA
	v_mul_lo_u32 v187, v158, v186                              // 000000002944: D28500BB 0003759E
	v_mul_hi_u32 v187, v186, v187                              // 00000000294C: D28600BB 000377BA
	v_add_u32_e32 v186, v186, v187                             // 000000002954: 697577BA
	v_mul_hi_u32 v186, v155, v186                              // 000000002958: D28600BA 0003759B
	v_mul_lo_u32 v187, v186, s53                               // 000000002960: D28500BB 00006BBA
	v_sub_u32_e32 v189, v155, v187                             // 000000002968: 6B7B779B
	v_add_u32_e32 v188, 1, v186                                // 00000000296C: 69797481
	v_cmp_le_u32_e32 vcc, s53, v189                            // 000000002970: 7D977A35
	v_subrev_u32_e32 v187, s53, v189                           // 000000002974: 6D777A35
	s_nop 0                                                    // 000000002978: BF800000
	v_cndmask_b32_e32 v186, v186, v188, vcc                    // 00000000297C: 017579BA
	v_cndmask_b32_e32 v189, v189, v187, vcc                    // 000000002980: 017B77BD
	v_add_u32_e32 v187, 1, v186                                // 000000002984: 69777481
	v_cmp_le_u32_e32 vcc, s53, v189                            // 000000002988: 7D977A35
	s_nop 1                                                    // 00000000298C: BF800001
	v_cndmask_b32_e32 v158, v186, v187, vcc                    // 000000002990: 013D77BA
	v_mul_i32_i24_e32 v188, s53, v158                          // 000000002994: 0D793C35
	v_sub_u32_e32 v188, v155, v188                             // 000000002998: 6B79799B
	v_mul_u32_u24_e32 v188, 0x100, v188                        // 00000000299C: 117978FF 00000100
	v_mul_u32_u24_e32 v199, s49, v158                          // 0000000029A4: 118F3C31
	v_add3_u32 v199, v188, v199, v162                          // 0000000029A8: D1FF00C7 068B8FBC
	v_mul_u32_u24_e32 v201, s67, v158                          // 0000000029B0: 11933C43
	v_add3_u32 v201, v188, v201, v162                          // 0000000029B4: D1FF00C9 068B93BC
	s_lshl_b32 s54, s57, 6                                     // 0000000029BC: 8E368639
	v_lshrrev_b32_e32 v162, 4, v0                              // 0000000029C0: 21440084
	v_lshlrev_b32_e32 v162, 4, v162                            // 0000000029C4: 25454484
	v_add_u32_e32 v162, s54, v162                              // 0000000029C8: 69454436
	v_and_b32_e32 v154, 15, v0                                 // 0000000029CC: 2734008F
	v_add_u32_e64 v155, v154, 16                               // 0000000029D0: D134009B 0001219A
	s_mul_i32 s54, s48, s53                                    // 0000000029D8: 92363530
	s_lshl_b32 s54, s54, 2                                     // 0000000029DC: 8E368236
	s_mul_i32 s55, s54, 0x80                                   // 0000000029E0: 9237FF36 00000080
	v_cvt_f32_u32_e32 v186, s53                                // 0000000029E8: 7F740C35
	v_sub_i32 v158, 0, s53                                     // 0000000029EC: D29D009E 00006A80
	v_rcp_iflag_f32_e32 v186, v186                             // 0000000029F4: 7F7447BA
	s_nop 0                                                    // 0000000029F8: BF800000
	v_mul_f32_e32 v186, 0x4f7ffffe, v186                       // 0000000029FC: 0B7574FF 4F7FFFFE
	v_cvt_u32_f32_e32 v186, v186                               // 000000002A04: 7F740FBA
	v_mul_lo_u32 v187, v158, v186                              // 000000002A08: D28500BB 0003759E
	v_mul_hi_u32 v187, v186, v187                              // 000000002A10: D28600BB 000377BA
	v_add_u32_e32 v186, v186, v187                             // 000000002A18: 697577BA
	v_mul_hi_u32 v186, v154, v186                              // 000000002A1C: D28600BA 0003759A
	v_mul_lo_u32 v187, v186, s53                               // 000000002A24: D28500BB 00006BBA
	v_sub_u32_e32 v189, v154, v187                             // 000000002A2C: 6B7B779A
	v_add_u32_e32 v188, 1, v186                                // 000000002A30: 69797481
	v_cmp_le_u32_e32 vcc, s53, v189                            // 000000002A34: 7D977A35
	v_subrev_u32_e32 v187, s53, v189                           // 000000002A38: 6D777A35
	s_nop 0                                                    // 000000002A3C: BF800000
	v_cndmask_b32_e32 v186, v186, v188, vcc                    // 000000002A40: 017579BA
	v_cndmask_b32_e32 v189, v189, v187, vcc                    // 000000002A44: 017B77BD
	v_add_u32_e32 v187, 1, v186                                // 000000002A48: 69777481
	v_cmp_le_u32_e32 vcc, s53, v189                            // 000000002A4C: 7D977A35
	s_nop 1                                                    // 000000002A50: BF800001
	v_cndmask_b32_e32 v158, v186, v187, vcc                    // 000000002A54: 013D77BA
	v_mul_i32_i24_e32 v188, s53, v158                          // 000000002A58: 0D793C35
	v_sub_u32_e32 v188, v154, v188                             // 000000002A5C: 6B79799A
	v_lshlrev_b32_e32 v189, 2, v188                            // 000000002A60: 257B7882
	v_mul_u32_u24_e32 v210, s54, v158                          // 000000002A64: 11A53C36
	v_add_u32_e32 v210, v189, v210                             // 000000002A68: 69A5A5BD
	v_mul_u32_u24_e32 v189, 0x200, v188                        // 000000002A6C: 117B78FF 00000200
	v_mul_u32_u24_e32 v212, s55, v158                          // 000000002A74: 11A93C37
	v_add3_u32 v212, v189, v212, v162                          // 000000002A78: D1FF00D4 068BA9BD
	v_cvt_f32_u32_e32 v186, s53                                // 000000002A80: 7F740C35
	v_sub_i32 v158, 0, s53                                     // 000000002A84: D29D009E 00006A80
	v_rcp_iflag_f32_e32 v186, v186                             // 000000002A8C: 7F7447BA
	s_nop 0                                                    // 000000002A90: BF800000
	v_mul_f32_e32 v186, 0x4f7ffffe, v186                       // 000000002A94: 0B7574FF 4F7FFFFE
	v_cvt_u32_f32_e32 v186, v186                               // 000000002A9C: 7F740FBA
	v_mul_lo_u32 v187, v158, v186                              // 000000002AA0: D28500BB 0003759E
	v_mul_hi_u32 v187, v186, v187                              // 000000002AA8: D28600BB 000377BA
	v_add_u32_e32 v186, v186, v187                             // 000000002AB0: 697577BA
	v_mul_hi_u32 v186, v155, v186                              // 000000002AB4: D28600BA 0003759B
	v_mul_lo_u32 v187, v186, s53                               // 000000002ABC: D28500BB 00006BBA
	v_sub_u32_e32 v189, v155, v187                             // 000000002AC4: 6B7B779B
	v_add_u32_e32 v188, 1, v186                                // 000000002AC8: 69797481
	v_cmp_le_u32_e32 vcc, s53, v189                            // 000000002ACC: 7D977A35
	v_subrev_u32_e32 v187, s53, v189                           // 000000002AD0: 6D777A35
	s_nop 0                                                    // 000000002AD4: BF800000
	v_cndmask_b32_e32 v186, v186, v188, vcc                    // 000000002AD8: 017579BA
	v_cndmask_b32_e32 v189, v189, v187, vcc                    // 000000002ADC: 017B77BD
	v_add_u32_e32 v187, 1, v186                                // 000000002AE0: 69777481
	v_cmp_le_u32_e32 vcc, s53, v189                            // 000000002AE4: 7D977A35
	s_nop 1                                                    // 000000002AE8: BF800001
	v_cndmask_b32_e32 v158, v186, v187, vcc                    // 000000002AEC: 013D77BA
	v_mul_i32_i24_e32 v188, s53, v158                          // 000000002AF0: 0D793C35
	v_sub_u32_e32 v188, v155, v188                             // 000000002AF4: 6B79799B
	v_lshlrev_b32_e32 v189, 2, v188                            // 000000002AF8: 257B7882
	v_mul_u32_u24_e32 v211, s54, v158                          // 000000002AFC: 11A73C36
	v_add_u32_e32 v211, v189, v211                             // 000000002B00: 69A7A7BD
	v_mul_u32_u24_e32 v189, 0x200, v188                        // 000000002B04: 117B78FF 00000200
	v_mul_u32_u24_e32 v213, s55, v158                          // 000000002B0C: 11AB3C37
	v_add3_u32 v213, v189, v213, v162                          // 000000002B10: D1FF00D5 068BABBD
	s_lshl_b32 s54, s57, 5                                     // 000000002B18: 8E368539
	v_and_b32_e32 v186, 15, v0                                 // 000000002B1C: 2774008F
	v_mul_i32_i24_e32 v186, 0x90, v186                         // 000000002B20: 0D7574FF 00000090
	v_lshrrev_b32_e32 v187, 4, v0                              // 000000002B28: 21760084
	v_lshlrev_b32_e32 v187, 3, v187                            // 000000002B2C: 25777683
	v_add3_u32 v214, v186, v187, s54                           // 000000002B30: D1FF00D6 00DB77BA
	v_and_b32_e32 v215, 15, v0                                 // 000000002B38: 27AE008F
	v_lshlrev_b32_e32 v215, 3, v215                            // 000000002B3C: 25AFAE83
	s_mul_i32 s54, s57, 0x240                                  // 000000002B40: 9236FF39 00000240
	v_lshrrev_b32_e32 v186, 4, v0                              // 000000002B48: 21740084
	v_lshlrev_b32_e32 v186, 7, v186                            // 000000002B4C: 25757487
	v_lshrrev_b32_e32 v187, 5, v0                              // 000000002B50: 21760085
	v_lshlrev_b32_e32 v187, 5, v187                            // 000000002B54: 25777685
	v_and_b32_e32 v188, 15, v0                                 // 000000002B58: 2778008F
	v_lshlrev_b32_e32 v188, 3, v188                            // 000000002B5C: 25797883
	v_add3_u32 v186, v186, v187, v188                          // 000000002B60: D1FF00BA 06F377BA
	v_add_u32_e32 v216, s54, v186                              // 000000002B68: 69B17436
	v_and_b32_e32 v186, 15, v0                                 // 000000002B6C: 2774008F
	v_lshlrev_b32_e32 v187, 7, v186                            // 000000002B70: 25777487
	v_lshrrev_b32_e32 v186, 1, v186                            // 000000002B74: 21757481
	v_lshlrev_b32_e32 v186, 5, v186                            // 000000002B78: 25757485
	v_lshrrev_b32_e32 v188, 4, v0                              // 000000002B7C: 21780084
	v_lshlrev_b32_e32 v188, 4, v188                            // 000000002B80: 25797884
	v_add3_u32 v217, v186, v187, v188                          // 000000002B84: D1FF00D9 06F377BA
	s_mul_i32 s54, s57, 0x240                                  // 000000002B8C: 9236FF39 00000240
	v_lshrrev_b32_e32 v186, 5, v0                              // 000000002B94: 21740085
	v_mul_i32_i24_e32 v186, 0x120, v186                        // 000000002B98: 0D7574FF 00000120
	v_lshrrev_b32_e32 v187, 4, v0                              // 000000002BA0: 21760084
	v_and_b32_e32 v187, 1, v187                                // 000000002BA4: 27777681
	v_lshlrev_b32_e32 v187, 3, v187                            // 000000002BA8: 25777683
	v_and_b32_e32 v188, 15, v0                                 // 000000002BAC: 2778008F
	v_lshlrev_b32_e32 v188, 4, v188                            // 000000002BB0: 25797884
	v_add3_u32 v218, v186, v187, v188                          // 000000002BB4: D1FF00DA 06F377BA
	v_add_u32_e32 v218, s54, v218                              // 000000002BBC: 69B5B436
	s_lshl_b32 s54, s57, 6                                     // 000000002BC0: 8E368639
	v_lshrrev_b32_e32 v186, 4, v0                              // 000000002BC4: 21740084
	v_lshlrev_b32_e32 v186, 4, v186                            // 000000002BC8: 25757484
	v_and_b32_e32 v187, 15, v0                                 // 000000002BCC: 2776008F
	v_mul_i32_i24_e32 v187, 0x120, v187                        // 000000002BD0: 0D7776FF 00000120
	v_add3_u32 v219, v186, v187, s54                           // 000000002BD8: D1FF00DB 00DB77BA
	v_lshrrev_b32_e32 v186, 4, v0                              // 000000002BE0: 21740084
	v_and_b32_e32 v187, 15, v0                                 // 000000002BE4: 2776008F
	v_lshlrev_b32_e32 v188, 4, v187                            // 000000002BE8: 25797684
	v_mul_i32_i24_e32 v202, 0x4000, v186                       // 000000002BEC: 0D9574FF 00004000
	v_add_u32_e32 v202, v188, v202                             // 000000002BF4: 699595BC
	v_add_u32_e32 v203, 0x10000, v202                          // 000000002BF8: 699794FF 00010000
	v_mul_i32_i24_e32 v204, 0x800, v186                        // 000000002C00: 0D9974FF 00000800
	v_add_u32_e32 v204, v188, v204                             // 000000002C08: 699999BC
	v_add_u32_e32 v205, 0x2000, v204                           // 000000002C0C: 699B98FF 00002000
	v_add_u32_e32 v206, 0x2000, v205                           // 000000002C14: 699D9AFF 00002000
	v_add_u32_e32 v207, 0x2000, v206                           // 000000002C1C: 699F9CFF 00002000
	v_mov_b32_e32 v208, 0                                      // 000000002C24: 7FA00280
	v_mov_b32_e32 v209, 0                                      // 000000002C28: 7FA20280
	s_lshl_b32 s54, s57, 4                                     // 000000002C2C: 8E368439
	v_lshrrev_b32_e32 v196, 4, v0                              // 000000002C30: 21880084
	v_lshlrev_b32_e32 v196, 2, v196                            // 000000002C34: 25898882
	v_add_u32_e32 v196, s54, v196                              // 000000002C38: 69898836
	s_lshl_b32 s54, s57, 6                                     // 000000002C3C: 8E368639
	v_add_u32_e32 v220, s54, v0                                // 000000002C40: 69B80036
	v_lshlrev_b32_e32 v220, 3, v220                            // 000000002C44: 25B9B883
	v_and_b32_e32 v221, 15, v0                                 // 000000002C48: 27BA008F
	v_lshlrev_b32_e32 v221, 3, v221                            // 000000002C4C: 25BBBA83
	s_lshl_b32 s54, s57, 8                                     // 000000002C50: 8E368839
	v_and_b32_e32 v187, 15, v0                                 // 000000002C54: 2776008F
	v_lshlrev_b32_e32 v187, 4, v187                            // 000000002C58: 25777684
	v_lshrrev_b32_e32 v188, 4, v0                              // 000000002C5C: 21780084
	v_lshlrev_b32_e32 v188, 2, v188                            // 000000002C60: 25797882
	v_add3_u32 v222, v187, v188, s54                           // 000000002C64: D1FF00DE 00DB79BB
	v_and_b32_e32 v186, 15, v0                                 // 000000002C6C: 2774008F
	v_lshlrev_b32_e32 v186, 4, v186                            // 000000002C70: 25757484
	v_lshrrev_b32_e32 v187, 4, v0                              // 000000002C74: 21760084
	v_lshlrev_b32_e32 v187, 8, v187                            // 000000002C78: 25777688
	v_add_u32_e32 v223, v186, v187                             // 000000002C7C: 69BF77BA
	s_waitcnt lgkmcnt(0)                                       // 000000002C80: BF8CC07F

0000000000002c84 <label_01A1>:
	s_cmp_lt_i32 s80, s81                                      // 000000002C84: BF045150
	s_cbranch_scc0 label_3279                                  // 000000002C88: BF8430D6
	s_lshl_b32 s54, s80, 5                                     // 000000002C8C: 8E368550
	s_load_dwordx8 s[72:79], s[38:39], s54                     // 000000002C90: C00C1213 00000036
	v_mov_b32_e32 v138, 0xff7fffff                             // 000000002C98: 7F1402FF FF7FFFFF
	v_mov_b64_e32 v[142:143], 0                                // 000000002CA0: 7F1C7080
	v_mov_b64_e32 v[146:147], 0                                // 000000002CA4: 7F247080
	v_mov_b64_e32 v[132:133], 0                                // 000000002CA8: 7F087080
	v_mov_b32_e32 v139, 0xff7fffff                             // 000000002CAC: 7F1602FF FF7FFFFF
	v_mov_b64_e32 v[144:145], 0                                // 000000002CB4: 7F207080
	v_mov_b64_e32 v[148:149], 0                                // 000000002CB8: 7F287080
	v_mov_b64_e32 v[134:135], 0                                // 000000002CBC: 7F0C7080
	v_mov_b32_e32 v108, 0                                      // 000000002CC0: 7ED80280
	v_mov_b32_e32 v92, 0                                       // 000000002CC4: 7EB80280
	v_mov_b32_e32 v109, 0                                      // 000000002CC8: 7EDA0280
	v_mov_b32_e32 v93, 0                                       // 000000002CCC: 7EBA0280
	v_mov_b32_e32 v110, 0                                      // 000000002CD0: 7EDC0280
	v_mov_b32_e32 v94, 0                                       // 000000002CD4: 7EBC0280
	v_mov_b32_e32 v111, 0                                      // 000000002CD8: 7EDE0280
	v_mov_b32_e32 v95, 0                                       // 000000002CDC: 7EBE0280
	v_mov_b32_e32 v112, 0                                      // 000000002CE0: 7EE00280
	v_mov_b32_e32 v96, 0                                       // 000000002CE4: 7EC00280
	v_mov_b32_e32 v113, 0                                      // 000000002CE8: 7EE20280
	v_mov_b32_e32 v97, 0                                       // 000000002CEC: 7EC20280
	v_mov_b32_e32 v114, 0                                      // 000000002CF0: 7EE40280
	v_mov_b32_e32 v98, 0                                       // 000000002CF4: 7EC40280
	v_mov_b32_e32 v115, 0                                      // 000000002CF8: 7EE60280
	v_mov_b32_e32 v99, 0                                       // 000000002CFC: 7EC60280
	v_mov_b32_e32 v116, 0                                      // 000000002D00: 7EE80280
	v_mov_b32_e32 v100, 0                                      // 000000002D04: 7EC80280
	v_mov_b32_e32 v117, 0                                      // 000000002D08: 7EEA0280
	v_mov_b32_e32 v101, 0                                      // 000000002D0C: 7ECA0280
	v_mov_b32_e32 v118, 0                                      // 000000002D10: 7EEC0280
	v_mov_b32_e32 v102, 0                                      // 000000002D14: 7ECC0280
	v_mov_b32_e32 v119, 0                                      // 000000002D18: 7EEE0280
	v_mov_b32_e32 v103, 0                                      // 000000002D1C: 7ECE0280
	v_mov_b32_e32 v120, 0                                      // 000000002D20: 7EF00280
	v_mov_b32_e32 v104, 0                                      // 000000002D24: 7ED00280
	v_mov_b32_e32 v121, 0                                      // 000000002D28: 7EF20280
	v_mov_b32_e32 v105, 0                                      // 000000002D2C: 7ED20280
	v_mov_b32_e32 v122, 0                                      // 000000002D30: 7EF40280
	v_mov_b32_e32 v106, 0                                      // 000000002D34: 7ED40280
	v_mov_b32_e32 v123, 0                                      // 000000002D38: 7EF60280
	v_mov_b32_e32 v107, 0                                      // 000000002D3C: 7ED60280
	s_waitcnt lgkmcnt(0)                                       // 000000002D40: BF8CC07F
	s_mul_i32 s64, s76, 0x400                                  // 000000002D44: 9240FF4C 00000400
	s_lshl_b32 s54, s72, 2                                     // 000000002D4C: 8E368248
	s_load_dword s60, s[44:45], s54                            // 000000002D50: C0000F16 00000036
	s_load_dword s61, s[40:41], s54                            // 000000002D58: C0000F54 00000036
	s_lshl_b32 s68, s76, 2                                     // 000000002D60: 8E44824C
	s_cmp_lt_u32 s76, s77                                      // 000000002D64: BF0A4D4C
	s_cselect_b32 s68, s68, 0                                  // 000000002D68: 85448044
	s_addk_i32 s76, 0x1                                        // 000000002D6C: B74C0001
	s_load_dword s59, s[42:43], s68                            // 000000002D70: C0000ED5 00000044
	s_and_b32 s79, s79, 0xffff                                 // 000000002D78: 864FFF4F 0000FFFF
	v_cvt_f32_u32_e32 v186, s53                                // 000000002D80: 7F740C35
	s_sub_i32 s78, 0, s53                                      // 000000002D84: 81CE3580
	v_rcp_iflag_f32_e32 v186, v186                             // 000000002D88: 7F7447BA
	s_nop 0                                                    // 000000002D8C: BF800000
	v_mul_f32_e32 v186, 0x4f7ffffe, v186                       // 000000002D90: 0B7574FF 4F7FFFFE
	v_cvt_u32_f32_e32 v186, v186                               // 000000002D98: 7F740FBA
	v_mul_lo_u32 v187, s78, v186                               // 000000002D9C: D28500BB 0003744E
	v_mul_hi_u32 v187, v186, v187                              // 000000002DA4: D28600BB 000377BA
	v_add_u32_e32 v186, v186, v187                             // 000000002DAC: 697577BA
	v_mul_hi_u32 v186, s79, v186                               // 000000002DB0: D28600BA 0003744F
	v_mul_lo_u32 v187, v186, s53                               // 000000002DB8: D28500BB 00006BBA
	v_sub_u32_e32 v189, s79, v187                              // 000000002DC0: 6B7B764F
	v_add_u32_e32 v188, 1, v186                                // 000000002DC4: 69797481
	v_cmp_le_u32_e32 vcc, s53, v189                            // 000000002DC8: 7D977A35
	v_subrev_u32_e32 v187, s53, v189                           // 000000002DCC: 6D777A35
	s_nop 0                                                    // 000000002DD0: BF800000
	v_cndmask_b32_e32 v186, v186, v188, vcc                    // 000000002DD4: 017579BA
	v_cndmask_b32_e32 v189, v189, v187, vcc                    // 000000002DD8: 017B77BD
	v_add_u32_e32 v187, 1, v186                                // 000000002DDC: 69777481
	v_cmp_le_u32_e32 vcc, s53, v189                            // 000000002DE0: 7D977A35
	s_nop 1                                                    // 000000002DE4: BF800001
	v_cndmask_b32_e32 v189, v186, v187, vcc                    // 000000002DE8: 017B77BA
	s_nop 3                                                    // 000000002DEC: BF800003
	v_readfirstlane_b32 s78, v189                              // 000000002DF0: 7E9C05BD
	s_nop 3                                                    // 000000002DF4: BF800003
	s_mul_i32 s65, s53, 0x100                                  // 000000002DF8: 9241FF35 00000100
	s_add_u32 s54, s52, 1                                      // 000000002E00: 80368134
	s_mul_i32 s54, s49, s54                                    // 000000002E04: 92363631
	s_mul_i32 s54, s72, s54                                    // 000000002E08: 92363648
	s_mul_i32 s55, s78, s65                                    // 000000002E0C: 9237414E
	s_add_u32 s54, s54, s55                                    // 000000002E10: 80363736
	s_add_u32 s8, s84, s54                                     // 000000002E14: 80083654
	s_addc_u32 s9, s85, 0                                      // 000000002E18: 82098055
	s_mul_i32 s54, s52, s49                                    // 000000002E1C: 92363134
	s_add_u32 s10, s54, s65                                    // 000000002E20: 800A4136
	s_add_u32 s54, s52, 1                                      // 000000002E24: 80368134
	s_mul_i32 s54, s54, s67                                    // 000000002E28: 92364336
	s_mul_i32 s54, s54, s72                                    // 000000002E2C: 92364836
	s_mul_i32 s55, s78, s65                                    // 000000002E30: 9237414E
	s_add_u32 s54, s54, s55                                    // 000000002E34: 80363736
	s_add_u32 s4, s82, s54                                     // 000000002E38: 80043652
	s_addc_u32 s5, s83, 0                                      // 000000002E3C: 82058053
	s_mul_i32 s54, s52, s67                                    // 000000002E40: 92364334
	s_add_u32 s6, s54, s65                                     // 000000002E44: 80064136
	s_mul_i32 s55, s53, 0x200                                  // 000000002E48: 9237FF35 00000200
	s_mul_i32 s54, s73, s48                                    // 000000002E50: 92363049
	s_add_u32 s54, s54, s78                                    // 000000002E54: 80364E36
	s_mul_i32 s54, s54, s55                                    // 000000002E58: 92363736
	s_add_u32 s28, s94, s54                                    // 000000002E5C: 801C365E
	s_addc_u32 s29, s95, 0                                     // 000000002E60: 821D805F
	s_add_u32 s54, s52, 1                                      // 000000002E64: 80368134
	s_mul_i32 s54, s54, s48                                    // 000000002E68: 92363036
	s_mul_i32 s30, s54, s55                                    // 000000002E6C: 921E3736
	s_mul_i32 s55, s53, 4                                      // 000000002E70: 92378435
	s_mul_i32 s54, s73, s48                                    // 000000002E74: 92363049
	s_add_u32 s54, s54, s78                                    // 000000002E78: 80364E36
	s_mul_i32 s54, s54, s55                                    // 000000002E7C: 92363736
	s_add_u32 s32, s96, s54                                    // 000000002E80: 80203660
	s_addc_u32 s33, s97, 0                                     // 000000002E84: 82218061
	s_add_u32 s54, s52, 1                                      // 000000002E88: 80368134
	s_mul_i32 s54, s54, s48                                    // 000000002E8C: 92363036
	s_mul_i32 s34, s54, s55                                    // 000000002E90: 92223736
	buffer_load_dwordx4 v[4:7], v198, s[8:11], 0 offen         // 000000002E94: E05C1000 800204C6
	buffer_load_dwordx4 v[8:11], v199, s[8:11], 0 offen        // 000000002E9C: E05C1000 800208C7
	s_waitcnt lgkmcnt(0)                                       // 000000002EA4: BF8CC07F
	s_mul_i32 s54, s60, 0x400                                  // 000000002EA8: 9236FF3C 00000400
	s_sub_i32 s64, s64, s54                                    // 000000002EB0: 81C03640
	s_mul_i32 s69, s59, s50                                    // 000000002EB4: 9245323B
	s_mul_i32 s71, s59, s66                                    // 000000002EB8: 9247423B
	s_mul_i32 s54, s78, s51                                    // 000000002EBC: 9236334E
	s_add_u32 s69, s69, s54                                    // 000000002EC0: 80453645
	s_mov_b32 s70, s69                                         // 000000002EC4: BEC60045
	s_mul_i32 s54, s78, 4                                      // 000000002EC8: 9236844E
	s_add_u32 s71, s71, s54                                    // 000000002ECC: 80473647
	s_add_u32 s12, s86, s69                                    // 000000002ED0: 800C4556
	s_addc_u32 s13, s87, 0                                     // 000000002ED4: 820D8057
	s_add_u32 s16, s88, s70                                    // 000000002ED8: 80104658
	s_addc_u32 s17, s89, 0                                     // 000000002EDC: 82118059
	s_add_u32 s20, s90, s71                                    // 000000002EE0: 8014475A
	s_addc_u32 s21, s91, 0                                     // 000000002EE4: 8215805B
	s_add_u32 s24, s92, s71                                    // 000000002EE8: 8018475C
	s_addc_u32 s25, s93, 0                                     // 000000002EEC: 8219805D
	s_add_u32 s69, s69, 0x1000                                 // 000000002EF0: 8045FF45 00001000
	s_add_u32 s70, s70, 0x8000                                 // 000000002EF8: 8046FF46 00008000
	buffer_load_dwordx4 a[0:3], v202, s[12:15], 0 offen        // 000000002F00: E05C1000 808300CA
	buffer_load_dwordx4 a[4:7], v203, s[12:15], 0 offen        // 000000002F08: E05C1000 808304CB
	buffer_load_dwordx4 a[8:11], v202, s[12:15], 0 offen offset:1024// 000000002F10: E05C1400 808308CA
	buffer_load_dwordx4 a[12:15], v203, s[12:15], 0 offen offset:1024// 000000002F18: E05C1400 80830CCB
	buffer_load_dwordx4 a[16:19], v202, s[12:15], 0 offen offset:2048// 000000002F20: E05C1800 808310CA
	buffer_load_dwordx4 a[20:23], v203, s[12:15], 0 offen offset:2048// 000000002F28: E05C1800 808314CB
	buffer_load_dwordx4 a[24:27], v202, s[12:15], 0 offen offset:3072// 000000002F30: E05C1C00 808318CA
	buffer_load_dwordx4 a[28:31], v203, s[12:15], 0 offen offset:3072// 000000002F38: E05C1C00 80831CCB
	buffer_load_dword v128, v208, s[20:23], 0 offen            // 000000002F40: E0501000 800580D0
	buffer_load_dword v130, v209, s[24:27], 0 offen            // 000000002F48: E0501000 800682D1
	buffer_load_dwordx4 a[64:67], v204, s[16:19], 0 offen      // 000000002F50: E05C1000 808440CC
	buffer_load_dwordx4 a[68:71], v205, s[16:19], 0 offen      // 000000002F58: E05C1000 808444CD
	buffer_load_dwordx4 a[72:75], v206, s[16:19], 0 offen      // 000000002F60: E05C1000 808448CE
	buffer_load_dwordx4 a[76:79], v207, s[16:19], 0 offen      // 000000002F68: E05C1000 80844CCF
	buffer_load_dwordx4 a[80:83], v204, s[16:19], 0 offen offset:1024// 000000002F70: E05C1400 808450CC
	buffer_load_dwordx4 a[84:87], v205, s[16:19], 0 offen offset:1024// 000000002F78: E05C1400 808454CD
	buffer_load_dwordx4 a[88:91], v206, s[16:19], 0 offen offset:1024// 000000002F80: E05C1400 808458CE
	buffer_load_dwordx4 a[92:95], v207, s[16:19], 0 offen offset:1024// 000000002F88: E05C1400 80845CCF
	s_sub_i32 s54, s77, s60                                    // 000000002F90: 81B63C4D
	s_mul_i32 s62, s54, 0x400                                  // 000000002F94: 923EFF36 00000400
	s_cmp_lt_i32 s62, s61                                      // 000000002F9C: BF043D3E
	s_cselect_b32 s62, s62, s61                                // 000000002FA0: 853E3D3E
	s_sub_i32 s54, s61, s52                                    // 000000002FA4: 81B6343D
	v_and_b32_e32 v154, 15, v0                                 // 000000002FA8: 2734008F
	v_add_u32_e32 v155, 16, v154                               // 000000002FAC: 69373490
	s_cmp_lt_i32 s62, s54                                      // 000000002FB0: BF04363E
	s_cselect_b32 s63, s62, s54                                // 000000002FB4: 853F363E
	s_and_b32 s63, s63, 0xffffff00                             // 000000002FB8: 863FFF3F FFFFFF00
	v_cvt_f32_u32_e32 v186, s53                                // 000000002FC0: 7F740C35
	v_sub_i32 v156, 0, s53                                     // 000000002FC4: D29D009C 00006A80
	v_rcp_iflag_f32_e32 v186, v186                             // 000000002FCC: 7F7447BA
	s_nop 0                                                    // 000000002FD0: BF800000
	v_mul_f32_e32 v186, 0x4f7ffffe, v186                       // 000000002FD4: 0B7574FF 4F7FFFFE
	v_cvt_u32_f32_e32 v186, v186                               // 000000002FDC: 7F740FBA
	v_mul_lo_u32 v187, v156, v186                              // 000000002FE0: D28500BB 0003759C
	v_mul_hi_u32 v187, v186, v187                              // 000000002FE8: D28600BB 000377BA
	v_add_u32_e32 v186, v186, v187                             // 000000002FF0: 697577BA
	v_mul_hi_u32 v186, v154, v186                              // 000000002FF4: D28600BA 0003759A
	v_mul_lo_u32 v187, v186, s53                               // 000000002FFC: D28500BB 00006BBA
	v_sub_u32_e32 v189, v154, v187                             // 000000003004: 6B7B779A
	v_add_u32_e32 v188, 1, v186                                // 000000003008: 69797481
	v_cmp_le_u32_e32 vcc, s53, v189                            // 00000000300C: 7D977A35
	v_subrev_u32_e32 v187, s53, v189                           // 000000003010: 6D777A35
	s_nop 0                                                    // 000000003014: BF800000
	v_cndmask_b32_e32 v186, v186, v188, vcc                    // 000000003018: 017579BA
	v_cndmask_b32_e32 v189, v189, v187, vcc                    // 00000000301C: 017B77BD
	v_add_u32_e32 v187, 1, v186                                // 000000003020: 69777481
	v_cmp_le_u32_e32 vcc, s53, v189                            // 000000003024: 7D977A35
	s_nop 1                                                    // 000000003028: BF800001
	v_cndmask_b32_e32 v156, v186, v187, vcc                    // 00000000302C: 013977BA
	v_add_u32_e32 v194, s54, v156                              // 000000003030: 69853836
	v_cmp_lt_u32_e32 vcc, s62, v194                            // 000000003034: 7D93843E
	v_mov_b32_e32 v186, s62                                    // 000000003038: 7F74023E
	v_cndmask_b32_e32 v194, v194, v186, vcc                    // 00000000303C: 018575C2
	v_cvt_f32_u32_e32 v186, s53                                // 000000003040: 7F740C35
	v_sub_i32 v156, 0, s53                                     // 000000003044: D29D009C 00006A80
	v_rcp_iflag_f32_e32 v186, v186                             // 00000000304C: 7F7447BA
	s_nop 0                                                    // 000000003050: BF800000
	v_mul_f32_e32 v186, 0x4f7ffffe, v186                       // 000000003054: 0B7574FF 4F7FFFFE
	v_cvt_u32_f32_e32 v186, v186                               // 00000000305C: 7F740FBA
	v_mul_lo_u32 v187, v156, v186                              // 000000003060: D28500BB 0003759C
	v_mul_hi_u32 v187, v186, v187                              // 000000003068: D28600BB 000377BA
	v_add_u32_e32 v186, v186, v187                             // 000000003070: 697577BA
	v_mul_hi_u32 v186, v155, v186                              // 000000003074: D28600BA 0003759B
	v_mul_lo_u32 v187, v186, s53                               // 00000000307C: D28500BB 00006BBA
	v_sub_u32_e32 v189, v155, v187                             // 000000003084: 6B7B779B
	v_add_u32_e32 v188, 1, v186                                // 000000003088: 69797481
	v_cmp_le_u32_e32 vcc, s53, v189                            // 00000000308C: 7D977A35
	v_subrev_u32_e32 v187, s53, v189                           // 000000003090: 6D777A35
	s_nop 0                                                    // 000000003094: BF800000
	v_cndmask_b32_e32 v186, v186, v188, vcc                    // 000000003098: 017579BA
	v_cndmask_b32_e32 v189, v189, v187, vcc                    // 00000000309C: 017B77BD
	v_add_u32_e32 v187, 1, v186                                // 0000000030A0: 69777481
	v_cmp_le_u32_e32 vcc, s53, v189                            // 0000000030A4: 7D977A35
	s_nop 1                                                    // 0000000030A8: BF800001
	v_cndmask_b32_e32 v156, v186, v187, vcc                    // 0000000030AC: 013977BA
	v_add_u32_e32 v195, s54, v156                              // 0000000030B0: 69873836
	v_cmp_lt_u32_e32 vcc, s62, v195                            // 0000000030B4: 7D93863E
	v_mov_b32_e32 v186, s62                                    // 0000000030B8: 7F74023E
	v_cndmask_b32_e32 v195, v195, v186, vcc                    // 0000000030BC: 018775C3
	s_waitcnt vmcnt(18)                                        // 0000000030C0: BF8C4F72
	v_lshlrev_b32_e32 v12, 16, v4                              // 0000000030C4: 24180890
	v_and_b32_e32 v13, 0xffff0000, v4                          // 0000000030C8: 261A08FF FFFF0000
	v_lshlrev_b32_e32 v14, 16, v5                              // 0000000030D0: 241C0A90
	v_and_b32_e32 v15, 0xffff0000, v5                          // 0000000030D4: 261E0AFF FFFF0000
	v_lshlrev_b32_e32 v16, 16, v6                              // 0000000030DC: 24200C90
	v_and_b32_e32 v17, 0xffff0000, v6                          // 0000000030E0: 26220CFF FFFF0000
	v_lshlrev_b32_e32 v18, 16, v7                              // 0000000030E8: 24240E90
	v_and_b32_e32 v19, 0xffff0000, v7                          // 0000000030EC: 26260EFF FFFF0000
	v_lshlrev_b32_e32 v20, 16, v8                              // 0000000030F4: 24281090
	v_and_b32_e32 v21, 0xffff0000, v8                          // 0000000030F8: 262A10FF FFFF0000
	v_lshlrev_b32_e32 v22, 16, v9                              // 000000003100: 242C1290
	v_and_b32_e32 v23, 0xffff0000, v9                          // 000000003104: 262E12FF FFFF0000
	v_lshlrev_b32_e32 v24, 16, v10                             // 00000000310C: 24301490
	v_and_b32_e32 v25, 0xffff0000, v10                         // 000000003110: 263214FF FFFF0000
	v_lshlrev_b32_e32 v26, 16, v11                             // 000000003118: 24341690
	v_and_b32_e32 v27, 0xffff0000, v11                         // 00000000311C: 263616FF FFFF0000
	v_mov_b32_e32 v150, 0x358637bd                             // 000000003124: 7F2C02FF 358637BD
	v_max3_f32 v150, |v12|, |v13|, v150                        // 00000000312C: D1D30396 065A1B0C
	v_max3_f32 v150, |v14|, |v15|, v150                        // 000000003134: D1D30396 065A1F0E
	v_max3_f32 v150, |v16|, |v17|, v150                        // 00000000313C: D1D30396 065A2310
	v_max3_f32 v150, |v18|, |v19|, v150                        // 000000003144: D1D30396 065A2712
	v_mov_b32_e32 v151, 0x358637bd                             // 00000000314C: 7F2E02FF 358637BD
	v_max3_f32 v151, |v20|, |v21|, v151                        // 000000003154: D1D30397 065E2B14
	v_max3_f32 v151, |v22|, |v23|, v151                        // 00000000315C: D1D30397 065E2F16
	v_max3_f32 v151, |v24|, |v25|, v151                        // 000000003164: D1D30397 065E3318
	v_max3_f32 v151, |v26|, |v27|, v151                        // 00000000316C: D1D30397 065E371A
	ds_write_b64 v214, v[150:151] offset:2304                  // 000000003174: D89A0900 000096D6
	s_waitcnt lgkmcnt(0)                                       // 00000000317C: BF8CC07F
	s_barrier                                                  // 000000003180: BF8A0000
	ds_read_b64 v[154:155], v215 offset:2304                   // 000000003184: D8EC0900 9A0000D7
	ds_read_b64 v[156:157], v215 offset:2448                   // 00000000318C: D8EC0990 9C0000D7
	ds_read_b64 v[158:159], v215 offset:2592                   // 000000003194: D8EC0A20 9E0000D7
	ds_read_b64 v[160:161], v215 offset:2736                   // 00000000319C: D8EC0AB0 A00000D7
	ds_read_b64 v[162:163], v215 offset:2880                   // 0000000031A4: D8EC0B40 A20000D7
	ds_read_b64 v[164:165], v215 offset:3024                   // 0000000031AC: D8EC0BD0 A40000D7
	ds_read_b64 v[166:167], v215 offset:3168                   // 0000000031B4: D8EC0C60 A60000D7
	ds_read_b64 v[168:169], v215 offset:3312                   // 0000000031BC: D8EC0CF0 A80000D7
	ds_read_b64 v[170:171], v215 offset:3456                   // 0000000031C4: D8EC0D80 AA0000D7
	ds_read_b64 v[172:173], v215 offset:3600                   // 0000000031CC: D8EC0E10 AC0000D7
	ds_read_b64 v[174:175], v215 offset:3744                   // 0000000031D4: D8EC0EA0 AE0000D7
	ds_read_b64 v[176:177], v215 offset:3888                   // 0000000031DC: D8EC0F30 B00000D7
	ds_read_b64 v[178:179], v215 offset:4032                   // 0000000031E4: D8EC0FC0 B20000D7
	ds_read_b64 v[180:181], v215 offset:4176                   // 0000000031EC: D8EC1050 B40000D7
	ds_read_b64 v[182:183], v215 offset:4320                   // 0000000031F4: D8EC10E0 B60000D7
	ds_read_b64 v[184:185], v215 offset:4464                   // 0000000031FC: D8EC1170 B80000D7
	s_waitcnt lgkmcnt(0)                                       // 000000003204: BF8CC07F
	v_mov_b32_e32 v150, 0x358637bd                             // 000000003208: 7F2C02FF 358637BD
	v_mov_b32_e32 v151, 0x358637bd                             // 000000003210: 7F2E02FF 358637BD
	v_max3_f32 v150, v154, v156, v150                          // 000000003218: D1D30096 065B399A
	v_max3_f32 v151, v155, v157, v151                          // 000000003220: D1D30097 065F3B9B
	v_max3_f32 v150, v158, v160, v150                          // 000000003228: D1D30096 065B419E
	v_max3_f32 v151, v159, v161, v151                          // 000000003230: D1D30097 065F439F
	v_max3_f32 v150, v162, v164, v150                          // 000000003238: D1D30096 065B49A2
	v_max3_f32 v151, v163, v165, v151                          // 000000003240: D1D30097 065F4BA3
	v_max3_f32 v150, v166, v168, v150                          // 000000003248: D1D30096 065B51A6
	v_max3_f32 v151, v167, v169, v151                          // 000000003250: D1D30097 065F53A7
	v_max3_f32 v150, v170, v172, v150                          // 000000003258: D1D30096 065B59AA
	v_max3_f32 v151, v171, v173, v151                          // 000000003260: D1D30097 065F5BAB
	v_max3_f32 v150, v174, v176, v150                          // 000000003268: D1D30096 065B61AE
	v_max3_f32 v151, v175, v177, v151                          // 000000003270: D1D30097 065F63AF
	v_max3_f32 v150, v178, v180, v150                          // 000000003278: D1D30096 065B69B2
	v_max3_f32 v151, v179, v181, v151                          // 000000003280: D1D30097 065F6BB3
	v_max3_f32 v150, v182, v184, v150                          // 000000003288: D1D30096 065B71B6
	v_max3_f32 v151, v183, v185, v151                          // 000000003290: D1D30097 065F73B7
	v_rcp_f32_e32 v150, v150                                   // 000000003298: 7F2C4596
	v_rcp_f32_e32 v151, v151                                   // 00000000329C: 7F2E4597
	v_mul_f32_e32 v150, 0x43700000, v150                       // 0000000032A0: 0B2D2CFF 43700000
	v_mul_f32_e32 v151, 0x43700000, v151                       // 0000000032A8: 0B2F2EFF 43700000
	s_lshl_b32 s54, s57, 2                                     // 0000000032B0: 8E368239
	v_lshrrev_b32_e32 v188, 4, v0                              // 0000000032B4: 21780084
	v_add_u32_e32 v188, s54, v188                              // 0000000032B8: 69797836
	v_lshlrev_b32_e32 v188, 2, v188                            // 0000000032BC: 25797882
	ds_bpermute_b32 v186, v188, v150                           // 0000000032C0: D87E0000 BA0096BC
	ds_bpermute_b32 v187, v188, v151                           // 0000000032C8: D87E0000 BB0097BC
	s_waitcnt lgkmcnt(0)                                       // 0000000032D0: BF8CC07F
	v_mul_f32_e32 v12, v12, v186                               // 0000000032D4: 0A19750C
	v_mul_f32_e32 v13, v13, v186                               // 0000000032D8: 0A1B750D
	v_mul_f32_e32 v14, v14, v186                               // 0000000032DC: 0A1D750E
	v_mul_f32_e32 v15, v15, v186                               // 0000000032E0: 0A1F750F
	v_mul_f32_e32 v16, v16, v186                               // 0000000032E4: 0A217510
	v_mul_f32_e32 v17, v17, v186                               // 0000000032E8: 0A237511
	v_mul_f32_e32 v18, v18, v186                               // 0000000032EC: 0A257512
	v_mul_f32_e32 v19, v19, v186                               // 0000000032F0: 0A277513
	v_mul_f32_e32 v20, v20, v187                               // 0000000032F4: 0A297714
	v_mul_f32_e32 v21, v21, v187                               // 0000000032F8: 0A2B7715
	v_mul_f32_e32 v22, v22, v187                               // 0000000032FC: 0A2D7716
	v_mul_f32_e32 v23, v23, v187                               // 000000003300: 0A2F7717
	v_mul_f32_e32 v24, v24, v187                               // 000000003304: 0A317718
	v_mul_f32_e32 v25, v25, v187                               // 000000003308: 0A337719
	v_mul_f32_e32 v26, v26, v187                               // 00000000330C: 0A35771A
	v_mul_f32_e32 v27, v27, v187                               // 000000003310: 0A37771B
	v_rcp_f32_e32 v124, v150                                   // 000000003314: 7EF84596
	v_rcp_f32_e32 v126, v151                                   // 000000003318: 7EFC4597
	v_mov_b32_e32 v125, v124                                   // 00000000331C: 7EFA037C
	v_mov_b32_e32 v127, v126                                   // 000000003320: 7EFE037E
	v_cvt_pk_fp8_f32 v12, v12, v13                             // 000000003324: D2A2000C 00021B0C
	v_cvt_pk_fp8_f32 v12, v14, v15 op_sel:[0,0,1]              // 00000000332C: D2A2400C 00021F0E
	v_cvt_pk_fp8_f32 v13, v16, v17                             // 000000003334: D2A2000D 00022310
	v_cvt_pk_fp8_f32 v13, v18, v19 op_sel:[0,0,1]              // 00000000333C: D2A2400D 00022712
	v_cvt_pk_fp8_f32 v14, v20, v21                             // 000000003344: D2A2000E 00022B14
	v_cvt_pk_fp8_f32 v14, v22, v23 op_sel:[0,0,1]              // 00000000334C: D2A2400E 00022F16
	v_cvt_pk_fp8_f32 v15, v24, v25                             // 000000003354: D2A2000F 00023318
	v_cvt_pk_fp8_f32 v15, v26, v27 op_sel:[0,0,1]              // 00000000335C: D2A2400F 0002371A
	ds_write_b64 v216, v[12:13] offset:4608                    // 000000003364: D89A1200 00000CD8
	ds_write_b64 v216, v[14:15] offset:6912                    // 00000000336C: D89A1B00 00000ED8
	s_waitcnt lgkmcnt(0)                                       // 000000003374: BF8CC07F
	s_barrier                                                  // 000000003378: BF8A0000
	ds_read_b128 v[12:15], v217 offset:4608                    // 00000000337C: D9FE1200 0C0000D9
	ds_read_b128 v[16:19], v217 offset:4672                    // 000000003384: D9FE1240 100000D9
	ds_read_b128 v[20:23], v217 offset:6912                    // 00000000338C: D9FE1B00 140000D9
	ds_read_b128 v[24:27], v217 offset:6976                    // 000000003394: D9FE1B40 180000D9
	s_waitcnt lgkmcnt(0)                                       // 00000000339C: BF8CC07F
	s_cmp_lt_i32 s57, 2                                        // 0000000033A0: BF048239
	s_cbranch_scc0 label_0F40                                  // 0000000033A4: BF840BD6

00000000000033a8 <label_036A>:
	s_cmp_lt_i32 s64, s63                                      // 0000000033A8: BF043F40
	s_cbranch_scc0 label_1B16                                  // 0000000033AC: BF8417AA
	s_waitcnt vmcnt(10)                                        // 0000000033B0: BF8C0F7A
	v_mfma_f32_16x16x32_fp8_fp8 v[28:31], a[0:1], v[12:13], 0  // 0000000033B4: D3F3001C 0A021900
	s_add_u32 s12, s86, s69                                    // 0000000033BC: 800C4556
	s_addc_u32 s13, s87, 0                                     // 0000000033C0: 820D8057
	v_mfma_f32_16x16x32_fp8_fp8 v[28:31], a[2:3], v[14:15], v[28:31]// 0000000033C4: D3F3001C 0C721D02
	s_add_u32 s16, s88, s70                                    // 0000000033CC: 80104658
	s_addc_u32 s17, s89, 0                                     // 0000000033D0: 82118059
	v_mfma_f32_16x16x32_fp8_fp8 v[28:31], a[4:5], v[16:17], v[28:31]// 0000000033D4: D3F3001C 0C722104
	buffer_load_dwordx4 a[32:35], v202, s[12:15], 0 offen      // 0000000033DC: E05C1000 808320CA
	v_mfma_f32_16x16x32_fp8_fp8 v[28:31], a[6:7], v[18:19], v[28:31]// 0000000033E4: D3F3001C 0C722506
	s_add_u32 s20, s90, s71                                    // 0000000033EC: 8014475A
	s_addc_u32 s21, s91, 0                                     // 0000000033F0: 8215805B
	v_mfma_f32_16x16x32_fp8_fp8 v[32:35], a[8:9], v[12:13], 0  // 0000000033F4: D3F30020 0A021908
	s_add_u32 s24, s92, s71                                    // 0000000033FC: 8018475C
	s_addc_u32 s25, s93, 0                                     // 000000003400: 8219805D
	v_mfma_f32_16x16x32_fp8_fp8 v[32:35], a[10:11], v[14:15], v[32:35]// 000000003404: D3F30020 0C821D0A
	s_add_u32 s69, s69, 0x1000                                 // 00000000340C: 8045FF45 00001000
	s_add_u32 s70, s70, 0x8000                                 // 000000003414: 8046FF46 00008000
	v_mfma_f32_16x16x32_fp8_fp8 v[32:35], a[12:13], v[16:17], v[32:35]// 00000000341C: D3F30020 0C82210C
	buffer_load_dwordx4 a[36:39], v203, s[12:15], 0 offen      // 000000003424: E05C1000 808324CB
	v_mfma_f32_16x16x32_fp8_fp8 v[32:35], a[14:15], v[18:19], v[32:35]// 00000000342C: D3F30020 0C82250E
	v_mfma_f32_16x16x32_fp8_fp8 v[36:39], a[16:17], v[12:13], 0// 000000003434: D3F30024 0A021910
	v_mfma_f32_16x16x32_fp8_fp8 v[36:39], a[18:19], v[14:15], v[36:39]// 00000000343C: D3F30024 0C921D12
	v_mfma_f32_16x16x32_fp8_fp8 v[36:39], a[20:21], v[16:17], v[36:39]// 000000003444: D3F30024 0C922114
	buffer_load_dwordx4 a[40:43], v202, s[12:15], 0 offen offset:1024// 00000000344C: E05C1400 808328CA
	v_mfma_f32_16x16x32_fp8_fp8 v[36:39], a[22:23], v[18:19], v[36:39]// 000000003454: D3F30024 0C922516
	v_mfma_f32_16x16x32_fp8_fp8 v[40:43], a[24:25], v[12:13], 0// 00000000345C: D3F30028 0A021918
	v_mfma_f32_16x16x32_fp8_fp8 v[40:43], a[26:27], v[14:15], v[40:43]// 000000003464: D3F30028 0CA21D1A
	v_mfma_f32_16x16x32_fp8_fp8 v[40:43], a[28:29], v[16:17], v[40:43]// 00000000346C: D3F30028 0CA2211C
	buffer_load_dwordx4 a[44:47], v203, s[12:15], 0 offen offset:1024// 000000003474: E05C1400 80832CCB
	v_mfma_f32_16x16x32_fp8_fp8 v[40:43], a[30:31], v[18:19], v[40:43]// 00000000347C: D3F30028 0CA2251E
	v_mfma_f32_16x16x32_fp8_fp8 v[44:47], a[0:1], v[20:21], 0  // 000000003484: D3F3002C 0A022900
	v_mfma_f32_16x16x32_fp8_fp8 v[44:47], a[2:3], v[22:23], v[44:47]// 00000000348C: D3F3002C 0CB22D02
	v_mfma_f32_16x16x32_fp8_fp8 v[44:47], a[4:5], v[24:25], v[44:47]// 000000003494: D3F3002C 0CB23104
	buffer_load_dwordx4 a[48:51], v202, s[12:15], 0 offen offset:2048// 00000000349C: E05C1800 808330CA
	v_mfma_f32_16x16x32_fp8_fp8 v[44:47], a[6:7], v[26:27], v[44:47]// 0000000034A4: D3F3002C 0CB23506
	v_mfma_f32_16x16x32_fp8_fp8 v[48:51], a[8:9], v[20:21], 0  // 0000000034AC: D3F30030 0A022908
	v_mfma_f32_16x16x32_fp8_fp8 v[48:51], a[10:11], v[22:23], v[48:51]// 0000000034B4: D3F30030 0CC22D0A
	v_mfma_f32_16x16x32_fp8_fp8 v[48:51], a[12:13], v[24:25], v[48:51]// 0000000034BC: D3F30030 0CC2310C
	buffer_load_dwordx4 a[52:55], v203, s[12:15], 0 offen offset:2048// 0000000034C4: E05C1800 808334CB
	v_mfma_f32_16x16x32_fp8_fp8 v[48:51], a[14:15], v[26:27], v[48:51]// 0000000034CC: D3F30030 0CC2350E
	v_mfma_f32_16x16x32_fp8_fp8 v[52:55], a[16:17], v[20:21], 0// 0000000034D4: D3F30034 0A022910
	v_mfma_f32_16x16x32_fp8_fp8 v[52:55], a[18:19], v[22:23], v[52:55]// 0000000034DC: D3F30034 0CD22D12
	v_mfma_f32_16x16x32_fp8_fp8 v[52:55], a[20:21], v[24:25], v[52:55]// 0000000034E4: D3F30034 0CD23114
	buffer_load_dwordx4 a[56:59], v202, s[12:15], 0 offen offset:3072// 0000000034EC: E05C1C00 808338CA
	v_mfma_f32_16x16x32_fp8_fp8 v[52:55], a[22:23], v[26:27], v[52:55]// 0000000034F4: D3F30034 0CD23516
	v_mfma_f32_16x16x32_fp8_fp8 v[56:59], a[24:25], v[20:21], 0// 0000000034FC: D3F30038 0A022918
	v_mfma_f32_16x16x32_fp8_fp8 v[56:59], a[26:27], v[22:23], v[56:59]// 000000003504: D3F30038 0CE22D1A
	v_mfma_f32_16x16x32_fp8_fp8 v[56:59], a[28:29], v[24:25], v[56:59]// 00000000350C: D3F30038 0CE2311C
	buffer_load_dwordx4 a[60:63], v203, s[12:15], 0 offen offset:3072// 000000003514: E05C1C00 80833CCB
	v_mfma_f32_16x16x32_fp8_fp8 v[56:59], a[30:31], v[26:27], v[56:59]// 00000000351C: D3F30038 0CE2351E
	s_waitcnt vmcnt(16)                                        // 000000003524: BF8C4F70
	v_pk_mul_f32 v[28:29], v[124:125], v[28:29]                // 000000003528: D3B1401C 1802397C
	v_pk_mul_f32 v[30:31], v[124:125], v[30:31]                // 000000003530: D3B1401E 18023D7C
	v_mul_f32_dpp v28, v128, v28 row_newbcast:0 row_mask:0xf bank_mask:0xf// 000000003538: 0A3838FA FF015080
	v_mul_f32_dpp v29, v128, v29 row_newbcast:1 row_mask:0xf bank_mask:0xf// 000000003540: 0A3A3AFA FF015180
	v_mul_f32_dpp v30, v128, v30 row_newbcast:2 row_mask:0xf bank_mask:0xf// 000000003548: 0A3C3CFA FF015280
	v_mul_f32_dpp v31, v128, v31 row_newbcast:3 row_mask:0xf bank_mask:0xf// 000000003550: 0A3E3EFA FF015380
	v_pk_mul_f32 v[32:33], v[124:125], v[32:33]                // 000000003558: D3B14020 1802417C
	v_pk_mul_f32 v[34:35], v[124:125], v[34:35]                // 000000003560: D3B14022 1802457C
	v_mul_f32_dpp v32, v128, v32 row_newbcast:4 row_mask:0xf bank_mask:0xf// 000000003568: 0A4040FA FF015480
	v_mul_f32_dpp v33, v128, v33 row_newbcast:5 row_mask:0xf bank_mask:0xf// 000000003570: 0A4242FA FF015580
	v_mul_f32_dpp v34, v128, v34 row_newbcast:6 row_mask:0xf bank_mask:0xf// 000000003578: 0A4444FA FF015680
	v_mul_f32_dpp v35, v128, v35 row_newbcast:7 row_mask:0xf bank_mask:0xf// 000000003580: 0A4646FA FF015780
	v_pk_mul_f32 v[36:37], v[124:125], v[36:37]                // 000000003588: D3B14024 1802497C
	v_pk_mul_f32 v[38:39], v[124:125], v[38:39]                // 000000003590: D3B14026 18024D7C
	v_mul_f32_dpp v36, v128, v36 row_newbcast:8 row_mask:0xf bank_mask:0xf// 000000003598: 0A4848FA FF015880
	v_mul_f32_dpp v37, v128, v37 row_newbcast:9 row_mask:0xf bank_mask:0xf// 0000000035A0: 0A4A4AFA FF015980
	v_mul_f32_dpp v38, v128, v38 row_newbcast:10 row_mask:0xf bank_mask:0xf// 0000000035A8: 0A4C4CFA FF015A80
	v_mul_f32_dpp v39, v128, v39 row_newbcast:11 row_mask:0xf bank_mask:0xf// 0000000035B0: 0A4E4EFA FF015B80
	v_pk_mul_f32 v[40:41], v[124:125], v[40:41]                // 0000000035B8: D3B14028 1802517C
	v_pk_mul_f32 v[42:43], v[124:125], v[42:43]                // 0000000035C0: D3B1402A 1802557C
	v_mul_f32_dpp v40, v128, v40 row_newbcast:12 row_mask:0xf bank_mask:0xf// 0000000035C8: 0A5050FA FF015C80
	v_mul_f32_dpp v41, v128, v41 row_newbcast:13 row_mask:0xf bank_mask:0xf// 0000000035D0: 0A5252FA FF015D80
	v_mul_f32_dpp v42, v128, v42 row_newbcast:14 row_mask:0xf bank_mask:0xf// 0000000035D8: 0A5454FA FF015E80
	v_mul_f32_dpp v43, v128, v43 row_newbcast:15 row_mask:0xf bank_mask:0xf// 0000000035E0: 0A5656FA FF015F80
	v_pk_mul_f32 v[44:45], v[126:127], v[44:45]                // 0000000035E8: D3B1402C 1802597E
	v_pk_mul_f32 v[46:47], v[126:127], v[46:47]                // 0000000035F0: D3B1402E 18025D7E
	v_mul_f32_dpp v44, v128, v44 row_newbcast:0 row_mask:0xf bank_mask:0xf// 0000000035F8: 0A5858FA FF015080
	v_mul_f32_dpp v45, v128, v45 row_newbcast:1 row_mask:0xf bank_mask:0xf// 000000003600: 0A5A5AFA FF015180
	v_mul_f32_dpp v46, v128, v46 row_newbcast:2 row_mask:0xf bank_mask:0xf// 000000003608: 0A5C5CFA FF015280
	v_mul_f32_dpp v47, v128, v47 row_newbcast:3 row_mask:0xf bank_mask:0xf// 000000003610: 0A5E5EFA FF015380
	v_pk_mul_f32 v[48:49], v[126:127], v[48:49]                // 000000003618: D3B14030 1802617E
	v_pk_mul_f32 v[50:51], v[126:127], v[50:51]                // 000000003620: D3B14032 1802657E
	v_mul_f32_dpp v48, v128, v48 row_newbcast:4 row_mask:0xf bank_mask:0xf// 000000003628: 0A6060FA FF015480
	v_mul_f32_dpp v49, v128, v49 row_newbcast:5 row_mask:0xf bank_mask:0xf// 000000003630: 0A6262FA FF015580
	v_mul_f32_dpp v50, v128, v50 row_newbcast:6 row_mask:0xf bank_mask:0xf// 000000003638: 0A6464FA FF015680
	v_mul_f32_dpp v51, v128, v51 row_newbcast:7 row_mask:0xf bank_mask:0xf// 000000003640: 0A6666FA FF015780
	v_pk_mul_f32 v[52:53], v[126:127], v[52:53]                // 000000003648: D3B14034 1802697E
	v_pk_mul_f32 v[54:55], v[126:127], v[54:55]                // 000000003650: D3B14036 18026D7E
	v_mul_f32_dpp v52, v128, v52 row_newbcast:8 row_mask:0xf bank_mask:0xf// 000000003658: 0A6868FA FF015880
	v_mul_f32_dpp v53, v128, v53 row_newbcast:9 row_mask:0xf bank_mask:0xf// 000000003660: 0A6A6AFA FF015980
	v_mul_f32_dpp v54, v128, v54 row_newbcast:10 row_mask:0xf bank_mask:0xf// 000000003668: 0A6C6CFA FF015A80
	v_mul_f32_dpp v55, v128, v55 row_newbcast:11 row_mask:0xf bank_mask:0xf// 000000003670: 0A6E6EFA FF015B80
	v_pk_mul_f32 v[56:57], v[126:127], v[56:57]                // 000000003678: D3B14038 1802717E
	v_pk_mul_f32 v[58:59], v[126:127], v[58:59]                // 000000003680: D3B1403A 1802757E
	v_mul_f32_dpp v56, v128, v56 row_newbcast:12 row_mask:0xf bank_mask:0xf// 000000003688: 0A7070FA FF015C80
	v_mul_f32_dpp v57, v128, v57 row_newbcast:13 row_mask:0xf bank_mask:0xf// 000000003690: 0A7272FA FF015D80
	v_mul_f32_dpp v58, v128, v58 row_newbcast:14 row_mask:0xf bank_mask:0xf// 000000003698: 0A7474FA FF015E80
	v_mul_f32_dpp v59, v128, v59 row_newbcast:15 row_mask:0xf bank_mask:0xf// 0000000036A0: 0A7676FA FF015F80
	v_mov_b32_e32 v150, v28                                    // 0000000036A8: 7F2C031C
	v_max3_f32 v150, v28, v29, v150                            // 0000000036AC: D1D30096 065A3B1C
	v_max3_f32 v150, v30, v31, v150                            // 0000000036B4: D1D30096 065A3F1E
	v_max3_f32 v150, v32, v33, v150                            // 0000000036BC: D1D30096 065A4320
	v_max3_f32 v150, v34, v35, v150                            // 0000000036C4: D1D30096 065A4722
	v_max3_f32 v150, v36, v37, v150                            // 0000000036CC: D1D30096 065A4B24
	v_max3_f32 v150, v38, v39, v150                            // 0000000036D4: D1D30096 065A4F26
	v_max3_f32 v150, v40, v41, v150                            // 0000000036DC: D1D30096 065A5328
	v_max3_f32 v150, v42, v43, v150                            // 0000000036E4: D1D30096 065A572A
	v_mov_b32_e32 v151, v44                                    // 0000000036EC: 7F2E032C
	v_max3_f32 v151, v44, v45, v151                            // 0000000036F0: D1D30097 065E5B2C
	v_max3_f32 v151, v46, v47, v151                            // 0000000036F8: D1D30097 065E5F2E
	v_max3_f32 v151, v48, v49, v151                            // 000000003700: D1D30097 065E6330
	v_max3_f32 v151, v50, v51, v151                            // 000000003708: D1D30097 065E6732
	v_max3_f32 v151, v52, v53, v151                            // 000000003710: D1D30097 065E6B34
	v_max3_f32 v151, v54, v55, v151                            // 000000003718: D1D30097 065E6F36
	v_max3_f32 v151, v56, v57, v151                            // 000000003720: D1D30097 065E7338
	v_max3_f32 v151, v58, v59, v151                            // 000000003728: D1D30097 065E773A
	ds_write_b64 v220, v[150:151]                              // 000000003730: D89A0000 000096DC
	v_pk_mul_f32 v[108:109], v[142:143], v[108:109]            // 000000003738: D3B1406C 1802D98E
	v_pk_mul_f32 v[110:111], v[142:143], v[110:111]            // 000000003740: D3B1406E 1802DD8E
	v_pk_mul_f32 v[112:113], v[142:143], v[112:113]            // 000000003748: D3B14070 1802E18E
	v_pk_mul_f32 v[114:115], v[142:143], v[114:115]            // 000000003750: D3B14072 1802E58E
	v_pk_mul_f32 v[116:117], v[144:145], v[116:117]            // 000000003758: D3B14074 1802E990
	v_pk_mul_f32 v[118:119], v[144:145], v[118:119]            // 000000003760: D3B14076 1802ED90
	v_pk_mul_f32 v[120:121], v[144:145], v[120:121]            // 000000003768: D3B14078 1802F190
	v_pk_mul_f32 v[122:123], v[144:145], v[122:123]            // 000000003770: D3B1407A 1802F590
	s_waitcnt lgkmcnt(0)                                       // 000000003778: BF8CC07F
	s_barrier                                                  // 00000000377C: BF8A0000
	ds_read_b64 v[154:155], v221                               // 000000003780: D8EC0000 9A0000DD
	ds_read_b64 v[156:157], v221 offset:128                    // 000000003788: D8EC0080 9C0000DD
	ds_read_b64 v[158:159], v221 offset:256                    // 000000003790: D8EC0100 9E0000DD
	ds_read_b64 v[160:161], v221 offset:384                    // 000000003798: D8EC0180 A00000DD
	ds_read_b64 v[162:163], v221 offset:512                    // 0000000037A0: D8EC0200 A20000DD
	ds_read_b64 v[164:165], v221 offset:640                    // 0000000037A8: D8EC0280 A40000DD
	ds_read_b64 v[166:167], v221 offset:768                    // 0000000037B0: D8EC0300 A60000DD
	ds_read_b64 v[168:169], v221 offset:896                    // 0000000037B8: D8EC0380 A80000DD
	ds_read_b64 v[170:171], v221 offset:1024                   // 0000000037C0: D8EC0400 AA0000DD
	ds_read_b64 v[172:173], v221 offset:1152                   // 0000000037C8: D8EC0480 AC0000DD
	ds_read_b64 v[174:175], v221 offset:1280                   // 0000000037D0: D8EC0500 AE0000DD
	ds_read_b64 v[176:177], v221 offset:1408                   // 0000000037D8: D8EC0580 B00000DD
	ds_read_b64 v[178:179], v221 offset:1536                   // 0000000037E0: D8EC0600 B20000DD
	ds_read_b64 v[180:181], v221 offset:1664                   // 0000000037E8: D8EC0680 B40000DD
	ds_read_b64 v[182:183], v221 offset:1792                   // 0000000037F0: D8EC0700 B60000DD
	ds_read_b64 v[184:185], v221 offset:1920                   // 0000000037F8: D8EC0780 B80000DD
	v_pk_mul_f32 v[92:93], v[132:133], v[92:93]                // 000000003800: D3B1405C 1802B984
	v_pk_mul_f32 v[94:95], v[132:133], v[94:95]                // 000000003808: D3B1405E 1802BD84
	v_pk_mul_f32 v[96:97], v[132:133], v[96:97]                // 000000003810: D3B14060 1802C184
	v_pk_mul_f32 v[98:99], v[132:133], v[98:99]                // 000000003818: D3B14062 1802C584
	v_pk_mul_f32 v[100:101], v[134:135], v[100:101]            // 000000003820: D3B14064 1802C986
	v_pk_mul_f32 v[102:103], v[134:135], v[102:103]            // 000000003828: D3B14066 1802CD86
	v_pk_mul_f32 v[104:105], v[134:135], v[104:105]            // 000000003830: D3B14068 1802D186
	v_pk_mul_f32 v[106:107], v[134:135], v[106:107]            // 000000003838: D3B1406A 1802D586
	s_waitcnt lgkmcnt(0)                                       // 000000003840: BF8CC07F
	v_max3_f32 v150, v154, v156, v150                          // 000000003844: D1D30096 065B399A
	v_max3_f32 v151, v155, v157, v151                          // 00000000384C: D1D30097 065F3B9B
	v_max3_f32 v150, v158, v160, v150                          // 000000003854: D1D30096 065B419E
	v_max3_f32 v151, v159, v161, v151                          // 00000000385C: D1D30097 065F439F
	v_max3_f32 v150, v162, v164, v150                          // 000000003864: D1D30096 065B49A2
	v_max3_f32 v151, v163, v165, v151                          // 00000000386C: D1D30097 065F4BA3
	v_max3_f32 v150, v166, v168, v150                          // 000000003874: D1D30096 065B51A6
	v_max3_f32 v151, v167, v169, v151                          // 00000000387C: D1D30097 065F53A7
	v_max3_f32 v150, v170, v172, v150                          // 000000003884: D1D30096 065B59AA
	v_max3_f32 v151, v171, v173, v151                          // 00000000388C: D1D30097 065F5BAB
	v_max3_f32 v150, v174, v176, v150                          // 000000003894: D1D30096 065B61AE
	v_max3_f32 v151, v175, v177, v151                          // 00000000389C: D1D30097 065F63AF
	v_max3_f32 v150, v178, v180, v150                          // 0000000038A4: D1D30096 065B69B2
	v_max3_f32 v151, v179, v181, v151                          // 0000000038AC: D1D30097 065F6BB3
	v_max3_f32 v150, v182, v184, v150                          // 0000000038B4: D1D30096 065B71B6
	v_max3_f32 v151, v183, v185, v151                          // 0000000038BC: D1D30097 065F73B7
	v_max_f32_e32 v140, v150, v138                             // 0000000038C4: 17191596
	v_mul_f32_e64 v186, -s46, v140                             // 0000000038C8: D10500BA 2003182E
	v_mov_b32_e32 v187, v186                                   // 0000000038D0: 7F7603BA
	v_pk_fma_f32 v[28:29], v[28:29], s[46:47], v[186:187]      // 0000000038D4: D3B0401C 1EE85D1C
	v_pk_fma_f32 v[30:31], v[30:31], s[46:47], v[186:187]      // 0000000038DC: D3B0401E 1EE85D1E
	v_exp_f32_e32 v28, v28                                     // 0000000038E4: 7E38411C
	v_exp_f32_e32 v29, v29                                     // 0000000038E8: 7E3A411D
	v_exp_f32_e32 v30, v30                                     // 0000000038EC: 7E3C411E
	v_exp_f32_e32 v31, v31                                     // 0000000038F0: 7E3E411F
	v_pk_fma_f32 v[32:33], v[32:33], s[46:47], v[186:187]      // 0000000038F4: D3B04020 1EE85D20
	v_pk_fma_f32 v[34:35], v[34:35], s[46:47], v[186:187]      // 0000000038FC: D3B04022 1EE85D22
	v_exp_f32_e32 v32, v32                                     // 000000003904: 7E404120
	v_exp_f32_e32 v33, v33                                     // 000000003908: 7E424121
	v_exp_f32_e32 v34, v34                                     // 00000000390C: 7E444122
	v_exp_f32_e32 v35, v35                                     // 000000003910: 7E464123
	v_pk_fma_f32 v[36:37], v[36:37], s[46:47], v[186:187]      // 000000003914: D3B04024 1EE85D24
	v_pk_fma_f32 v[38:39], v[38:39], s[46:47], v[186:187]      // 00000000391C: D3B04026 1EE85D26
	v_exp_f32_e32 v36, v36                                     // 000000003924: 7E484124
	v_exp_f32_e32 v37, v37                                     // 000000003928: 7E4A4125
	v_exp_f32_e32 v38, v38                                     // 00000000392C: 7E4C4126
	v_exp_f32_e32 v39, v39                                     // 000000003930: 7E4E4127
	v_pk_fma_f32 v[40:41], v[40:41], s[46:47], v[186:187]      // 000000003934: D3B04028 1EE85D28
	v_pk_fma_f32 v[42:43], v[42:43], s[46:47], v[186:187]      // 00000000393C: D3B0402A 1EE85D2A
	v_exp_f32_e32 v40, v40                                     // 000000003944: 7E504128
	v_exp_f32_e32 v41, v41                                     // 000000003948: 7E524129
	v_exp_f32_e32 v42, v42                                     // 00000000394C: 7E54412A
	v_exp_f32_e32 v43, v43                                     // 000000003950: 7E56412B
	v_max_f32_e32 v141, v151, v139                             // 000000003954: 171B1797
	v_mul_f32_e64 v186, -s46, v141                             // 000000003958: D10500BA 20031A2E
	v_mov_b32_e32 v187, v186                                   // 000000003960: 7F7603BA
	v_pk_fma_f32 v[44:45], v[44:45], s[46:47], v[186:187]      // 000000003964: D3B0402C 1EE85D2C
	v_pk_fma_f32 v[46:47], v[46:47], s[46:47], v[186:187]      // 00000000396C: D3B0402E 1EE85D2E
	v_exp_f32_e32 v44, v44                                     // 000000003974: 7E58412C
	v_exp_f32_e32 v45, v45                                     // 000000003978: 7E5A412D
	v_exp_f32_e32 v46, v46                                     // 00000000397C: 7E5C412E
	v_exp_f32_e32 v47, v47                                     // 000000003980: 7E5E412F
	v_pk_fma_f32 v[48:49], v[48:49], s[46:47], v[186:187]      // 000000003984: D3B04030 1EE85D30
	v_pk_fma_f32 v[50:51], v[50:51], s[46:47], v[186:187]      // 00000000398C: D3B04032 1EE85D32
	v_exp_f32_e32 v48, v48                                     // 000000003994: 7E604130
	v_exp_f32_e32 v49, v49                                     // 000000003998: 7E624131
	v_exp_f32_e32 v50, v50                                     // 00000000399C: 7E644132
	v_exp_f32_e32 v51, v51                                     // 0000000039A0: 7E664133
	v_pk_fma_f32 v[52:53], v[52:53], s[46:47], v[186:187]      // 0000000039A4: D3B04034 1EE85D34
	v_pk_fma_f32 v[54:55], v[54:55], s[46:47], v[186:187]      // 0000000039AC: D3B04036 1EE85D36
	v_exp_f32_e32 v52, v52                                     // 0000000039B4: 7E684134
	v_exp_f32_e32 v53, v53                                     // 0000000039B8: 7E6A4135
	v_exp_f32_e32 v54, v54                                     // 0000000039BC: 7E6C4136
	v_exp_f32_e32 v55, v55                                     // 0000000039C0: 7E6E4137
	v_pk_fma_f32 v[56:57], v[56:57], s[46:47], v[186:187]      // 0000000039C4: D3B04038 1EE85D38
	v_pk_fma_f32 v[58:59], v[58:59], s[46:47], v[186:187]      // 0000000039CC: D3B0403A 1EE85D3A
	v_exp_f32_e32 v56, v56                                     // 0000000039D4: 7E704138
	v_exp_f32_e32 v57, v57                                     // 0000000039D8: 7E724139
	v_exp_f32_e32 v58, v58                                     // 0000000039DC: 7E74413A
	v_exp_f32_e32 v59, v59                                     // 0000000039E0: 7E76413B
	v_mul_f32_dpp v60, v130, v28 row_newbcast:0 row_mask:0xf bank_mask:0xf// 0000000039E4: 0A7838FA FF015082
	v_mul_f32_dpp v61, v130, v29 row_newbcast:1 row_mask:0xf bank_mask:0xf// 0000000039EC: 0A7A3AFA FF015182
	v_mul_f32_dpp v62, v130, v30 row_newbcast:2 row_mask:0xf bank_mask:0xf// 0000000039F4: 0A7C3CFA FF015282
	v_mul_f32_dpp v63, v130, v31 row_newbcast:3 row_mask:0xf bank_mask:0xf// 0000000039FC: 0A7E3EFA FF015382
	v_mul_f32_dpp v64, v130, v32 row_newbcast:4 row_mask:0xf bank_mask:0xf// 000000003A04: 0A8040FA FF015482
	v_mul_f32_dpp v65, v130, v33 row_newbcast:5 row_mask:0xf bank_mask:0xf// 000000003A0C: 0A8242FA FF015582
	v_mul_f32_dpp v66, v130, v34 row_newbcast:6 row_mask:0xf bank_mask:0xf// 000000003A14: 0A8444FA FF015682
	v_mul_f32_dpp v67, v130, v35 row_newbcast:7 row_mask:0xf bank_mask:0xf// 000000003A1C: 0A8646FA FF015782
	v_mul_f32_dpp v68, v130, v36 row_newbcast:8 row_mask:0xf bank_mask:0xf// 000000003A24: 0A8848FA FF015882
	v_mul_f32_dpp v69, v130, v37 row_newbcast:9 row_mask:0xf bank_mask:0xf// 000000003A2C: 0A8A4AFA FF015982
	v_mul_f32_dpp v70, v130, v38 row_newbcast:10 row_mask:0xf bank_mask:0xf// 000000003A34: 0A8C4CFA FF015A82
	v_mul_f32_dpp v71, v130, v39 row_newbcast:11 row_mask:0xf bank_mask:0xf// 000000003A3C: 0A8E4EFA FF015B82
	v_mul_f32_dpp v72, v130, v40 row_newbcast:12 row_mask:0xf bank_mask:0xf// 000000003A44: 0A9050FA FF015C82
	v_mul_f32_dpp v73, v130, v41 row_newbcast:13 row_mask:0xf bank_mask:0xf// 000000003A4C: 0A9252FA FF015D82
	v_mul_f32_dpp v74, v130, v42 row_newbcast:14 row_mask:0xf bank_mask:0xf// 000000003A54: 0A9454FA FF015E82
	v_mul_f32_dpp v75, v130, v43 row_newbcast:15 row_mask:0xf bank_mask:0xf// 000000003A5C: 0A9656FA FF015F82
	v_mul_f32_dpp v76, v130, v44 row_newbcast:0 row_mask:0xf bank_mask:0xf// 000000003A64: 0A9858FA FF015082
	v_mul_f32_dpp v77, v130, v45 row_newbcast:1 row_mask:0xf bank_mask:0xf// 000000003A6C: 0A9A5AFA FF015182
	v_mul_f32_dpp v78, v130, v46 row_newbcast:2 row_mask:0xf bank_mask:0xf// 000000003A74: 0A9C5CFA FF015282
	v_mul_f32_dpp v79, v130, v47 row_newbcast:3 row_mask:0xf bank_mask:0xf// 000000003A7C: 0A9E5EFA FF015382
	v_mul_f32_dpp v80, v130, v48 row_newbcast:4 row_mask:0xf bank_mask:0xf// 000000003A84: 0AA060FA FF015482
	v_mul_f32_dpp v81, v130, v49 row_newbcast:5 row_mask:0xf bank_mask:0xf// 000000003A8C: 0AA262FA FF015582
	v_mul_f32_dpp v82, v130, v50 row_newbcast:6 row_mask:0xf bank_mask:0xf// 000000003A94: 0AA464FA FF015682
	v_mul_f32_dpp v83, v130, v51 row_newbcast:7 row_mask:0xf bank_mask:0xf// 000000003A9C: 0AA666FA FF015782
	v_mul_f32_dpp v84, v130, v52 row_newbcast:8 row_mask:0xf bank_mask:0xf// 000000003AA4: 0AA868FA FF015882
	v_mul_f32_dpp v85, v130, v53 row_newbcast:9 row_mask:0xf bank_mask:0xf// 000000003AAC: 0AAA6AFA FF015982
	v_mul_f32_dpp v86, v130, v54 row_newbcast:10 row_mask:0xf bank_mask:0xf// 000000003AB4: 0AAC6CFA FF015A82
	v_mul_f32_dpp v87, v130, v55 row_newbcast:11 row_mask:0xf bank_mask:0xf// 000000003ABC: 0AAE6EFA FF015B82
	v_mul_f32_dpp v88, v130, v56 row_newbcast:12 row_mask:0xf bank_mask:0xf// 000000003AC4: 0AB070FA FF015C82
	v_mul_f32_dpp v89, v130, v57 row_newbcast:13 row_mask:0xf bank_mask:0xf// 000000003ACC: 0AB272FA FF015D82
	v_mul_f32_dpp v90, v130, v58 row_newbcast:14 row_mask:0xf bank_mask:0xf// 000000003AD4: 0AB474FA FF015E82
	v_mul_f32_dpp v91, v130, v59 row_newbcast:15 row_mask:0xf bank_mask:0xf// 000000003ADC: 0AB676FA FF015F82
	buffer_load_dword v129, v208, s[20:23], 0 offen            // 000000003AE4: E0501000 800581D0
	v_sub_f32_e32 v142, v138, v140                             // 000000003AEC: 051D198A
	v_cmp_eq_u32_e64 s[98:99], v197, v138                      // 000000003AF0: D0CA0062 000315C5
	v_cndmask_b32_e64 v142, v142, 0, s[98:99]                  // 000000003AF8: D100008E 0189018E
	v_mov_b32_e32 v138, v140                                   // 000000003B00: 7F14038C
	v_mul_f32_e32 v142, s46, v142                              // 000000003B04: 0B1D1C2E
	v_exp_f32_e32 v142, v142                                   // 000000003B08: 7F1C418E
	v_sub_f32_e32 v144, v139, v141                             // 000000003B0C: 05211B8B
	v_cmp_eq_u32_e64 s[98:99], v197, v139                      // 000000003B10: D0CA0062 000317C5
	v_cndmask_b32_e64 v144, v144, 0, s[98:99]                  // 000000003B18: D1000090 01890190
	v_mov_b32_e32 v139, v141                                   // 000000003B20: 7F16038D
	v_mul_f32_e32 v144, s46, v144                              // 000000003B24: 0B21202E
	v_exp_f32_e32 v144, v144                                   // 000000003B28: 7F204190
	v_mov_b32_e32 v143, v142                                   // 000000003B2C: 7F1E038E
	v_mov_b32_e32 v145, v144                                   // 000000003B30: 7F220390
	buffer_load_dword v131, v209, s[24:27], 0 offen            // 000000003B34: E0501000 800683D1
	s_waitcnt lgkmcnt(0)                                       // 000000003B3C: BF8CC07F
	s_barrier                                                  // 000000003B40: BF8A0000
	v_mul_f32_e32 v146, v142, v146                             // 000000003B44: 0B25258E
	v_mov_b32_e32 v147, 0                                      // 000000003B48: 7F260280
	v_pk_add_f32 v[146:147], v[28:29], v[146:147]              // 000000003B4C: D3B24092 1803251C
	v_pk_add_f32 v[146:147], v[30:31], v[146:147]              // 000000003B54: D3B24092 1803251E
	v_pk_add_f32 v[146:147], v[32:33], v[146:147]              // 000000003B5C: D3B24092 18032520
	v_pk_add_f32 v[146:147], v[34:35], v[146:147]              // 000000003B64: D3B24092 18032522
	v_pk_add_f32 v[146:147], v[36:37], v[146:147]              // 000000003B6C: D3B24092 18032524
	v_pk_add_f32 v[146:147], v[38:39], v[146:147]              // 000000003B74: D3B24092 18032526
	v_pk_add_f32 v[146:147], v[40:41], v[146:147]              // 000000003B7C: D3B24092 18032528
	v_pk_add_f32 v[146:147], v[42:43], v[146:147]              // 000000003B84: D3B24092 1803252A
	v_add_f32_e32 v146, v147, v146                             // 000000003B8C: 03252593
	v_mul_f32_e32 v148, v144, v148                             // 000000003B90: 0B292990
	v_mov_b32_e32 v149, 0                                      // 000000003B94: 7F2A0280
	v_pk_add_f32 v[148:149], v[44:45], v[148:149]              // 000000003B98: D3B24094 1803292C
	v_pk_add_f32 v[148:149], v[46:47], v[148:149]              // 000000003BA0: D3B24094 1803292E
	v_pk_add_f32 v[148:149], v[48:49], v[148:149]              // 000000003BA8: D3B24094 18032930
	v_pk_add_f32 v[148:149], v[50:51], v[148:149]              // 000000003BB0: D3B24094 18032932
	v_pk_add_f32 v[148:149], v[52:53], v[148:149]              // 000000003BB8: D3B24094 18032934
	v_pk_add_f32 v[148:149], v[54:55], v[148:149]              // 000000003BC0: D3B24094 18032936
	v_pk_add_f32 v[148:149], v[56:57], v[148:149]              // 000000003BC8: D3B24094 18032938
	v_pk_add_f32 v[148:149], v[58:59], v[148:149]              // 000000003BD0: D3B24094 1803293A
	v_add_f32_e32 v148, v149, v148                             // 000000003BD8: 03292995
	s_waitcnt lgkmcnt(0)                                       // 000000003BDC: BF8CC07F
	v_sub_f32_e32 v150, v150, v138                             // 000000003BE0: 052D1596
	v_sub_f32_e32 v151, v151, v139                             // 000000003BE4: 052F1797
	v_mul_f32_e32 v150, s46, v150                              // 000000003BE8: 0B2D2C2E
	v_mul_f32_e32 v151, s46, v151                              // 000000003BEC: 0B2F2E2E
	v_exp_f32_e32 v150, v150                                   // 000000003BF0: 7F2C4196
	v_exp_f32_e32 v151, v151                                   // 000000003BF4: 7F2E4197
	v_mul_f32_e32 v150, v130, v150                             // 000000003BF8: 0B2D2D82
	v_mul_f32_e32 v151, v130, v151                             // 000000003BFC: 0B2F2F82
	v_add_f32_e32 v150, 0x3089705f, v150                       // 000000003C00: 032D2CFF 3089705F
	v_add_f32_e32 v151, 0x3089705f, v151                       // 000000003C08: 032F2EFF 3089705F
	v_rcp_f32_e32 v150, v150                                   // 000000003C10: 7F2C4596
	v_rcp_f32_e32 v151, v151                                   // 000000003C14: 7F2E4597
	v_mul_f32_e32 v150, 0x43700000, v150                       // 000000003C18: 0B2D2CFF 43700000
	v_mul_f32_e32 v151, 0x43700000, v151                       // 000000003C20: 0B2F2EFF 43700000
	v_mov_b32_e32 v152, v151                                   // 000000003C28: 7F300397
	v_mov_b32_e32 v153, v151                                   // 000000003C2C: 7F320397
	v_mov_b32_e32 v151, v150                                   // 000000003C30: 7F2E0396
	v_pk_mul_f32 v[28:29], v[150:151], v[60:61]                // 000000003C34: D3B1401C 18027996
	v_pk_mul_f32 v[30:31], v[150:151], v[62:63]                // 000000003C3C: D3B1401E 18027D96
	v_pk_mul_f32 v[32:33], v[150:151], v[64:65]                // 000000003C44: D3B14020 18028196
	v_pk_mul_f32 v[34:35], v[150:151], v[66:67]                // 000000003C4C: D3B14022 18028596
	v_pk_mul_f32 v[36:37], v[150:151], v[68:69]                // 000000003C54: D3B14024 18028996
	v_pk_mul_f32 v[38:39], v[150:151], v[70:71]                // 000000003C5C: D3B14026 18028D96
	v_pk_mul_f32 v[40:41], v[150:151], v[72:73]                // 000000003C64: D3B14028 18029196
	v_pk_mul_f32 v[42:43], v[150:151], v[74:75]                // 000000003C6C: D3B1402A 18029596
	v_pk_mul_f32 v[44:45], v[152:153], v[76:77]                // 000000003C74: D3B1402C 18029998
	v_pk_mul_f32 v[46:47], v[152:153], v[78:79]                // 000000003C7C: D3B1402E 18029D98
	v_pk_mul_f32 v[48:49], v[152:153], v[80:81]                // 000000003C84: D3B14030 1802A198
	v_pk_mul_f32 v[50:51], v[152:153], v[82:83]                // 000000003C8C: D3B14032 1802A598
	v_pk_mul_f32 v[52:53], v[152:153], v[84:85]                // 000000003C94: D3B14034 1802A998
	v_pk_mul_f32 v[54:55], v[152:153], v[86:87]                // 000000003C9C: D3B14036 1802AD98
	v_pk_mul_f32 v[56:57], v[152:153], v[88:89]                // 000000003CA4: D3B14038 1802B198
	v_pk_mul_f32 v[58:59], v[152:153], v[90:91]                // 000000003CAC: D3B1403A 1802B598
	v_cvt_pk_fp8_f32 v28, v28, v29                             // 000000003CB4: D2A2001C 00023B1C
	v_cvt_pk_fp8_f32 v28, v30, v31 op_sel:[0,0,1]              // 000000003CBC: D2A2401C 00023F1E
	v_cvt_pk_fp8_f32 v29, v32, v33                             // 000000003CC4: D2A2001D 00024320
	v_cvt_pk_fp8_f32 v29, v34, v35 op_sel:[0,0,1]              // 000000003CCC: D2A2401D 00024722
	v_cvt_pk_fp8_f32 v30, v36, v37                             // 000000003CD4: D2A2001E 00024B24
	v_cvt_pk_fp8_f32 v30, v38, v39 op_sel:[0,0,1]              // 000000003CDC: D2A2401E 00024F26
	v_cvt_pk_fp8_f32 v31, v40, v41                             // 000000003CE4: D2A2001F 00025328
	v_cvt_pk_fp8_f32 v31, v42, v43 op_sel:[0,0,1]              // 000000003CEC: D2A2401F 0002572A
	v_cvt_pk_fp8_f32 v32, v44, v45                             // 000000003CF4: D2A20020 00025B2C
	v_cvt_pk_fp8_f32 v32, v46, v47 op_sel:[0,0,1]              // 000000003CFC: D2A24020 00025F2E
	v_cvt_pk_fp8_f32 v33, v48, v49                             // 000000003D04: D2A20021 00026330
	v_cvt_pk_fp8_f32 v33, v50, v51 op_sel:[0,0,1]              // 000000003D0C: D2A24021 00026732
	v_cvt_pk_fp8_f32 v34, v52, v53                             // 000000003D14: D2A20022 00026B34
	v_cvt_pk_fp8_f32 v34, v54, v55 op_sel:[0,0,1]              // 000000003D1C: D2A24022 00026F36
	v_cvt_pk_fp8_f32 v35, v56, v57                             // 000000003D24: D2A20023 00027338
	v_cvt_pk_fp8_f32 v35, v58, v59 op_sel:[0,0,1]              // 000000003D2C: D2A24023 0002773A
	ds_write_b32 v222, v28 offset:4608                         // 000000003D34: D81A1200 00001CDE
	ds_write_b32 v222, v29 offset:5632                         // 000000003D3C: D81A1600 00001DDE
	ds_write_b32 v222, v30 offset:6656                         // 000000003D44: D81A1A00 00001EDE
	ds_write_b32 v222, v31 offset:7680                         // 000000003D4C: D81A1E00 00001FDE
	ds_write_b32 v222, v32 offset:8704                         // 000000003D54: D81A2200 000020DE
	ds_write_b32 v222, v33 offset:9728                         // 000000003D5C: D81A2600 000021DE
	ds_write_b32 v222, v34 offset:10752                        // 000000003D64: D81A2A00 000022DE
	ds_write_b32 v222, v35 offset:11776                        // 000000003D6C: D81A2E00 000023DE
	v_rcp_f32_e32 v132, v150                                   // 000000003D74: 7F084596
	v_rcp_f32_e32 v134, v152                                   // 000000003D78: 7F0C4598
	v_mov_b32_e32 v133, v132                                   // 000000003D7C: 7F0A0384
	v_mov_b32_e32 v135, v134                                   // 000000003D80: 7F0E0386
	v_pk_add_f32 v[108:109], v[108:109], v[92:93]              // 000000003D84: D3B2406C 1802B96C
	v_pk_add_f32 v[110:111], v[110:111], v[94:95]              // 000000003D8C: D3B2406E 1802BD6E
	v_pk_add_f32 v[112:113], v[112:113], v[96:97]              // 000000003D94: D3B24070 1802C170
	v_pk_add_f32 v[114:115], v[114:115], v[98:99]              // 000000003D9C: D3B24072 1802C572
	v_pk_add_f32 v[116:117], v[116:117], v[100:101]            // 000000003DA4: D3B24074 1802C974
	v_pk_add_f32 v[118:119], v[118:119], v[102:103]            // 000000003DAC: D3B24076 1802CD76
	v_pk_add_f32 v[120:121], v[120:121], v[104:105]            // 000000003DB4: D3B24078 1802D178
	v_pk_add_f32 v[122:123], v[122:123], v[106:107]            // 000000003DBC: D3B2407A 1802D57A
	s_waitcnt lgkmcnt(0)                                       // 000000003DC4: BF8CC07F
	s_barrier                                                  // 000000003DC8: BF8A0000
	ds_read_b128 v[28:31], v223 offset:4608                    // 000000003DCC: D9FE1200 1C0000DF
	ds_read_b128 v[32:35], v223 offset:5632                    // 000000003DD4: D9FE1600 200000DF
	ds_read_b128 v[36:39], v223 offset:6656                    // 000000003DDC: D9FE1A00 240000DF
	ds_read_b128 v[40:43], v223 offset:7680                    // 000000003DE4: D9FE1E00 280000DF
	ds_read_b128 v[44:47], v223 offset:8704                    // 000000003DEC: D9FE2200 2C0000DF
	ds_read_b128 v[48:51], v223 offset:9728                    // 000000003DF4: D9FE2600 300000DF
	ds_read_b128 v[52:55], v223 offset:10752                   // 000000003DFC: D9FE2A00 340000DF
	ds_read_b128 v[56:59], v223 offset:11776                   // 000000003E04: D9FE2E00 380000DF
	s_waitcnt vmcnt(10)                                        // 000000003E0C: BF8C0F7A
	s_waitcnt lgkmcnt(7)                                       // 000000003E10: BF8CC77F
	v_mfma_f32_16x16x32_fp8_fp8 v[92:95], a[64:65], v[28:29], 0// 000000003E14: D3F3005C 0A023940
	s_lshl_b32 s68, s76, 2                                     // 000000003E1C: 8E44824C
	v_mfma_f32_16x16x32_fp8_fp8 v[96:99], a[80:81], v[28:29], 0// 000000003E20: D3F30060 0A023950
	s_cmp_lt_u32 s76, s77                                      // 000000003E28: BF0A4D4C
	s_cselect_b32 s68, s68, 0                                  // 000000003E2C: 85448044
	v_mfma_f32_16x16x32_fp8_fp8 v[92:95], a[66:67], v[30:31], v[92:95]// 000000003E30: D3F3005C 0D723D42
	buffer_load_dwordx4 a[96:99], v204, s[16:19], 0 offen      // 000000003E38: E05C1000 808460CC
	v_mfma_f32_16x16x32_fp8_fp8 v[96:99], a[82:83], v[30:31], v[96:99]// 000000003E40: D3F30060 0D823D52
	s_addk_i32 s76, 0x1                                        // 000000003E48: B74C0001
	s_waitcnt lgkmcnt(6)                                       // 000000003E4C: BF8CC67F
	v_mfma_f32_16x16x32_fp8_fp8 v[92:95], a[68:69], v[32:33], v[92:95]// 000000003E50: D3F3005C 0D724144
	v_mfma_f32_16x16x32_fp8_fp8 v[96:99], a[84:85], v[32:33], v[96:99]// 000000003E58: D3F30060 0D824154
	v_mfma_f32_16x16x32_fp8_fp8 v[92:95], a[70:71], v[34:35], v[92:95]// 000000003E60: D3F3005C 0D724546
	buffer_load_dwordx4 a[100:103], v205, s[16:19], 0 offen    // 000000003E68: E05C1000 808464CD
	v_mfma_f32_16x16x32_fp8_fp8 v[96:99], a[86:87], v[34:35], v[96:99]// 000000003E70: D3F30060 0D824556
	s_waitcnt lgkmcnt(5)                                       // 000000003E78: BF8CC57F
	v_mfma_f32_16x16x32_fp8_fp8 v[92:95], a[72:73], v[36:37], v[92:95]// 000000003E7C: D3F3005C 0D724948
	v_mfma_f32_16x16x32_fp8_fp8 v[96:99], a[88:89], v[36:37], v[96:99]// 000000003E84: D3F30060 0D824958
	v_mfma_f32_16x16x32_fp8_fp8 v[92:95], a[74:75], v[38:39], v[92:95]// 000000003E8C: D3F3005C 0D724D4A
	buffer_load_dwordx4 a[104:107], v206, s[16:19], 0 offen    // 000000003E94: E05C1000 808468CE
	v_mfma_f32_16x16x32_fp8_fp8 v[96:99], a[90:91], v[38:39], v[96:99]// 000000003E9C: D3F30060 0D824D5A
	s_waitcnt lgkmcnt(4)                                       // 000000003EA4: BF8CC47F
	v_mfma_f32_16x16x32_fp8_fp8 v[92:95], a[76:77], v[40:41], v[92:95]// 000000003EA8: D3F3005C 0D72514C
	v_mfma_f32_16x16x32_fp8_fp8 v[96:99], a[92:93], v[40:41], v[96:99]// 000000003EB0: D3F30060 0D82515C
	v_mfma_f32_16x16x32_fp8_fp8 v[92:95], a[78:79], v[42:43], v[92:95]// 000000003EB8: D3F3005C 0D72554E
	buffer_load_dwordx4 a[108:111], v207, s[16:19], 0 offen    // 000000003EC0: E05C1000 80846CCF
	v_mfma_f32_16x16x32_fp8_fp8 v[96:99], a[94:95], v[42:43], v[96:99]// 000000003EC8: D3F30060 0D82555E
	s_waitcnt lgkmcnt(3)                                       // 000000003ED0: BF8CC37F
	v_mfma_f32_16x16x32_fp8_fp8 v[100:103], a[64:65], v[44:45], 0// 000000003ED4: D3F30064 0A025940
	v_mfma_f32_16x16x32_fp8_fp8 v[104:107], a[80:81], v[44:45], 0// 000000003EDC: D3F30068 0A025950
	v_mfma_f32_16x16x32_fp8_fp8 v[100:103], a[66:67], v[46:47], v[100:103]// 000000003EE4: D3F30064 0D925D42
	buffer_load_dwordx4 a[112:115], v204, s[16:19], 0 offen offset:1024// 000000003EEC: E05C1400 808470CC
	v_mfma_f32_16x16x32_fp8_fp8 v[104:107], a[82:83], v[46:47], v[104:107]// 000000003EF4: D3F30068 0DA25D52
	s_waitcnt lgkmcnt(2)                                       // 000000003EFC: BF8CC27F
	v_mfma_f32_16x16x32_fp8_fp8 v[100:103], a[68:69], v[48:49], v[100:103]// 000000003F00: D3F30064 0D926144
	v_mfma_f32_16x16x32_fp8_fp8 v[104:107], a[84:85], v[48:49], v[104:107]// 000000003F08: D3F30068 0DA26154
	v_mfma_f32_16x16x32_fp8_fp8 v[100:103], a[70:71], v[50:51], v[100:103]// 000000003F10: D3F30064 0D926546
	buffer_load_dwordx4 a[116:119], v205, s[16:19], 0 offen offset:1024// 000000003F18: E05C1400 808474CD
	v_mfma_f32_16x16x32_fp8_fp8 v[104:107], a[86:87], v[50:51], v[104:107]// 000000003F20: D3F30068 0DA26556
	s_waitcnt lgkmcnt(1)                                       // 000000003F28: BF8CC17F
	v_mfma_f32_16x16x32_fp8_fp8 v[100:103], a[72:73], v[52:53], v[100:103]// 000000003F2C: D3F30064 0D926948
	v_mfma_f32_16x16x32_fp8_fp8 v[104:107], a[88:89], v[52:53], v[104:107]// 000000003F34: D3F30068 0DA26958
	v_mfma_f32_16x16x32_fp8_fp8 v[100:103], a[74:75], v[54:55], v[100:103]// 000000003F3C: D3F30064 0D926D4A
	buffer_load_dwordx4 a[120:123], v206, s[16:19], 0 offen offset:1024// 000000003F44: E05C1400 808478CE
	v_mfma_f32_16x16x32_fp8_fp8 v[104:107], a[90:91], v[54:55], v[104:107]// 000000003F4C: D3F30068 0DA26D5A
	s_waitcnt lgkmcnt(0)                                       // 000000003F54: BF8CC07F
	v_mfma_f32_16x16x32_fp8_fp8 v[100:103], a[76:77], v[56:57], v[100:103]// 000000003F58: D3F30064 0D92714C
	v_mfma_f32_16x16x32_fp8_fp8 v[104:107], a[92:93], v[56:57], v[104:107]// 000000003F60: D3F30068 0DA2715C
	v_mfma_f32_16x16x32_fp8_fp8 v[100:103], a[78:79], v[58:59], v[100:103]// 000000003F68: D3F30064 0D92754E
	buffer_load_dwordx4 a[124:127], v207, s[16:19], 0 offen offset:1024// 000000003F70: E05C1400 80847CCF
	v_mfma_f32_16x16x32_fp8_fp8 v[104:107], a[94:95], v[58:59], v[104:107]// 000000003F78: D3F30068 0DA2755E
	s_load_dword s59, s[42:43], s68                            // 000000003F80: C0000ED5 00000044
	s_addk_i32 s64, 0x100                                      // 000000003F88: B7400100
	s_cmp_lt_i32 s64, s63                                      // 000000003F8C: BF043F40
	s_cbranch_scc0 label_20A3                                  // 000000003F90: BF841A3E
	s_waitcnt vmcnt(10)                                        // 000000003F94: BF8C0F7A
	v_mfma_f32_16x16x32_fp8_fp8 v[28:31], a[32:33], v[12:13], 0// 000000003F98: D3F3001C 0A021920
	s_add_u32 s12, s86, s69                                    // 000000003FA0: 800C4556
	s_addc_u32 s13, s87, 0                                     // 000000003FA4: 820D8057
	v_mfma_f32_16x16x32_fp8_fp8 v[28:31], a[34:35], v[14:15], v[28:31]// 000000003FA8: D3F3001C 0C721D22
	s_add_u32 s16, s88, s70                                    // 000000003FB0: 80104658
	s_addc_u32 s17, s89, 0                                     // 000000003FB4: 82118059
	v_mfma_f32_16x16x32_fp8_fp8 v[28:31], a[36:37], v[16:17], v[28:31]// 000000003FB8: D3F3001C 0C722124
	buffer_load_dwordx4 a[0:3], v202, s[12:15], 0 offen        // 000000003FC0: E05C1000 808300CA
	v_mfma_f32_16x16x32_fp8_fp8 v[28:31], a[38:39], v[18:19], v[28:31]// 000000003FC8: D3F3001C 0C722526
	s_add_u32 s20, s90, s71                                    // 000000003FD0: 8014475A
	s_addc_u32 s21, s91, 0                                     // 000000003FD4: 8215805B
	v_mfma_f32_16x16x32_fp8_fp8 v[32:35], a[40:41], v[12:13], 0// 000000003FD8: D3F30020 0A021928
	s_add_u32 s24, s92, s71                                    // 000000003FE0: 8018475C
	s_addc_u32 s25, s93, 0                                     // 000000003FE4: 8219805D
	v_mfma_f32_16x16x32_fp8_fp8 v[32:35], a[42:43], v[14:15], v[32:35]// 000000003FE8: D3F30020 0C821D2A
	s_add_u32 s69, s69, 0x1000                                 // 000000003FF0: 8045FF45 00001000
	s_add_u32 s70, s70, 0x8000                                 // 000000003FF8: 8046FF46 00008000
	v_mfma_f32_16x16x32_fp8_fp8 v[32:35], a[44:45], v[16:17], v[32:35]// 000000004000: D3F30020 0C82212C
	buffer_load_dwordx4 a[4:7], v203, s[12:15], 0 offen        // 000000004008: E05C1000 808304CB
	v_mfma_f32_16x16x32_fp8_fp8 v[32:35], a[46:47], v[18:19], v[32:35]// 000000004010: D3F30020 0C82252E
	v_mfma_f32_16x16x32_fp8_fp8 v[36:39], a[48:49], v[12:13], 0// 000000004018: D3F30024 0A021930
	v_mfma_f32_16x16x32_fp8_fp8 v[36:39], a[50:51], v[14:15], v[36:39]// 000000004020: D3F30024 0C921D32
	v_mfma_f32_16x16x32_fp8_fp8 v[36:39], a[52:53], v[16:17], v[36:39]// 000000004028: D3F30024 0C922134
	buffer_load_dwordx4 a[8:11], v202, s[12:15], 0 offen offset:1024// 000000004030: E05C1400 808308CA
	v_mfma_f32_16x16x32_fp8_fp8 v[36:39], a[54:55], v[18:19], v[36:39]// 000000004038: D3F30024 0C922536
	v_mfma_f32_16x16x32_fp8_fp8 v[40:43], a[56:57], v[12:13], 0// 000000004040: D3F30028 0A021938
	v_mfma_f32_16x16x32_fp8_fp8 v[40:43], a[58:59], v[14:15], v[40:43]// 000000004048: D3F30028 0CA21D3A
	v_mfma_f32_16x16x32_fp8_fp8 v[40:43], a[60:61], v[16:17], v[40:43]// 000000004050: D3F30028 0CA2213C
	buffer_load_dwordx4 a[12:15], v203, s[12:15], 0 offen offset:1024// 000000004058: E05C1400 80830CCB
	v_mfma_f32_16x16x32_fp8_fp8 v[40:43], a[62:63], v[18:19], v[40:43]// 000000004060: D3F30028 0CA2253E
	v_mfma_f32_16x16x32_fp8_fp8 v[44:47], a[32:33], v[20:21], 0// 000000004068: D3F3002C 0A022920
	v_mfma_f32_16x16x32_fp8_fp8 v[44:47], a[34:35], v[22:23], v[44:47]// 000000004070: D3F3002C 0CB22D22
	v_mfma_f32_16x16x32_fp8_fp8 v[44:47], a[36:37], v[24:25], v[44:47]// 000000004078: D3F3002C 0CB23124
	buffer_load_dwordx4 a[16:19], v202, s[12:15], 0 offen offset:2048// 000000004080: E05C1800 808310CA
	v_mfma_f32_16x16x32_fp8_fp8 v[44:47], a[38:39], v[26:27], v[44:47]// 000000004088: D3F3002C 0CB23526
	v_mfma_f32_16x16x32_fp8_fp8 v[48:51], a[40:41], v[20:21], 0// 000000004090: D3F30030 0A022928
	v_mfma_f32_16x16x32_fp8_fp8 v[48:51], a[42:43], v[22:23], v[48:51]// 000000004098: D3F30030 0CC22D2A
	v_mfma_f32_16x16x32_fp8_fp8 v[48:51], a[44:45], v[24:25], v[48:51]// 0000000040A0: D3F30030 0CC2312C
	buffer_load_dwordx4 a[20:23], v203, s[12:15], 0 offen offset:2048// 0000000040A8: E05C1800 808314CB
	v_mfma_f32_16x16x32_fp8_fp8 v[48:51], a[46:47], v[26:27], v[48:51]// 0000000040B0: D3F30030 0CC2352E
	v_mfma_f32_16x16x32_fp8_fp8 v[52:55], a[48:49], v[20:21], 0// 0000000040B8: D3F30034 0A022930
	v_mfma_f32_16x16x32_fp8_fp8 v[52:55], a[50:51], v[22:23], v[52:55]// 0000000040C0: D3F30034 0CD22D32
	v_mfma_f32_16x16x32_fp8_fp8 v[52:55], a[52:53], v[24:25], v[52:55]// 0000000040C8: D3F30034 0CD23134
	buffer_load_dwordx4 a[24:27], v202, s[12:15], 0 offen offset:3072// 0000000040D0: E05C1C00 808318CA
	v_mfma_f32_16x16x32_fp8_fp8 v[52:55], a[54:55], v[26:27], v[52:55]// 0000000040D8: D3F30034 0CD23536
	v_mfma_f32_16x16x32_fp8_fp8 v[56:59], a[56:57], v[20:21], 0// 0000000040E0: D3F30038 0A022938
	v_mfma_f32_16x16x32_fp8_fp8 v[56:59], a[58:59], v[22:23], v[56:59]// 0000000040E8: D3F30038 0CE22D3A
	v_mfma_f32_16x16x32_fp8_fp8 v[56:59], a[60:61], v[24:25], v[56:59]// 0000000040F0: D3F30038 0CE2313C
	buffer_load_dwordx4 a[28:31], v203, s[12:15], 0 offen offset:3072// 0000000040F8: E05C1C00 80831CCB
	v_mfma_f32_16x16x32_fp8_fp8 v[56:59], a[62:63], v[26:27], v[56:59]// 000000004100: D3F30038 0CE2353E
	s_waitcnt vmcnt(16)                                        // 000000004108: BF8C4F70
	v_pk_mul_f32 v[28:29], v[124:125], v[28:29]                // 00000000410C: D3B1401C 1802397C
	v_pk_mul_f32 v[30:31], v[124:125], v[30:31]                // 000000004114: D3B1401E 18023D7C
	v_mul_f32_dpp v28, v129, v28 row_newbcast:0 row_mask:0xf bank_mask:0xf// 00000000411C: 0A3838FA FF015081
	v_mul_f32_dpp v29, v129, v29 row_newbcast:1 row_mask:0xf bank_mask:0xf// 000000004124: 0A3A3AFA FF015181
	v_mul_f32_dpp v30, v129, v30 row_newbcast:2 row_mask:0xf bank_mask:0xf// 00000000412C: 0A3C3CFA FF015281
	v_mul_f32_dpp v31, v129, v31 row_newbcast:3 row_mask:0xf bank_mask:0xf// 000000004134: 0A3E3EFA FF015381
	v_pk_mul_f32 v[32:33], v[124:125], v[32:33]                // 00000000413C: D3B14020 1802417C
	v_pk_mul_f32 v[34:35], v[124:125], v[34:35]                // 000000004144: D3B14022 1802457C
	v_mul_f32_dpp v32, v129, v32 row_newbcast:4 row_mask:0xf bank_mask:0xf// 00000000414C: 0A4040FA FF015481
	v_mul_f32_dpp v33, v129, v33 row_newbcast:5 row_mask:0xf bank_mask:0xf// 000000004154: 0A4242FA FF015581
	v_mul_f32_dpp v34, v129, v34 row_newbcast:6 row_mask:0xf bank_mask:0xf// 00000000415C: 0A4444FA FF015681
	v_mul_f32_dpp v35, v129, v35 row_newbcast:7 row_mask:0xf bank_mask:0xf// 000000004164: 0A4646FA FF015781
	v_pk_mul_f32 v[36:37], v[124:125], v[36:37]                // 00000000416C: D3B14024 1802497C
	v_pk_mul_f32 v[38:39], v[124:125], v[38:39]                // 000000004174: D3B14026 18024D7C
	v_mul_f32_dpp v36, v129, v36 row_newbcast:8 row_mask:0xf bank_mask:0xf// 00000000417C: 0A4848FA FF015881
	v_mul_f32_dpp v37, v129, v37 row_newbcast:9 row_mask:0xf bank_mask:0xf// 000000004184: 0A4A4AFA FF015981
	v_mul_f32_dpp v38, v129, v38 row_newbcast:10 row_mask:0xf bank_mask:0xf// 00000000418C: 0A4C4CFA FF015A81
	v_mul_f32_dpp v39, v129, v39 row_newbcast:11 row_mask:0xf bank_mask:0xf// 000000004194: 0A4E4EFA FF015B81
	v_pk_mul_f32 v[40:41], v[124:125], v[40:41]                // 00000000419C: D3B14028 1802517C
	v_pk_mul_f32 v[42:43], v[124:125], v[42:43]                // 0000000041A4: D3B1402A 1802557C
	v_mul_f32_dpp v40, v129, v40 row_newbcast:12 row_mask:0xf bank_mask:0xf// 0000000041AC: 0A5050FA FF015C81
	v_mul_f32_dpp v41, v129, v41 row_newbcast:13 row_mask:0xf bank_mask:0xf// 0000000041B4: 0A5252FA FF015D81
	v_mul_f32_dpp v42, v129, v42 row_newbcast:14 row_mask:0xf bank_mask:0xf// 0000000041BC: 0A5454FA FF015E81
	v_mul_f32_dpp v43, v129, v43 row_newbcast:15 row_mask:0xf bank_mask:0xf// 0000000041C4: 0A5656FA FF015F81
	v_pk_mul_f32 v[44:45], v[126:127], v[44:45]                // 0000000041CC: D3B1402C 1802597E
	v_pk_mul_f32 v[46:47], v[126:127], v[46:47]                // 0000000041D4: D3B1402E 18025D7E
	v_mul_f32_dpp v44, v129, v44 row_newbcast:0 row_mask:0xf bank_mask:0xf// 0000000041DC: 0A5858FA FF015081
	v_mul_f32_dpp v45, v129, v45 row_newbcast:1 row_mask:0xf bank_mask:0xf// 0000000041E4: 0A5A5AFA FF015181
	v_mul_f32_dpp v46, v129, v46 row_newbcast:2 row_mask:0xf bank_mask:0xf// 0000000041EC: 0A5C5CFA FF015281
	v_mul_f32_dpp v47, v129, v47 row_newbcast:3 row_mask:0xf bank_mask:0xf// 0000000041F4: 0A5E5EFA FF015381
	v_pk_mul_f32 v[48:49], v[126:127], v[48:49]                // 0000000041FC: D3B14030 1802617E
	v_pk_mul_f32 v[50:51], v[126:127], v[50:51]                // 000000004204: D3B14032 1802657E
	v_mul_f32_dpp v48, v129, v48 row_newbcast:4 row_mask:0xf bank_mask:0xf// 00000000420C: 0A6060FA FF015481
	v_mul_f32_dpp v49, v129, v49 row_newbcast:5 row_mask:0xf bank_mask:0xf// 000000004214: 0A6262FA FF015581
	v_mul_f32_dpp v50, v129, v50 row_newbcast:6 row_mask:0xf bank_mask:0xf// 00000000421C: 0A6464FA FF015681
	v_mul_f32_dpp v51, v129, v51 row_newbcast:7 row_mask:0xf bank_mask:0xf// 000000004224: 0A6666FA FF015781
	v_pk_mul_f32 v[52:53], v[126:127], v[52:53]                // 00000000422C: D3B14034 1802697E
	v_pk_mul_f32 v[54:55], v[126:127], v[54:55]                // 000000004234: D3B14036 18026D7E
	v_mul_f32_dpp v52, v129, v52 row_newbcast:8 row_mask:0xf bank_mask:0xf// 00000000423C: 0A6868FA FF015881
	v_mul_f32_dpp v53, v129, v53 row_newbcast:9 row_mask:0xf bank_mask:0xf// 000000004244: 0A6A6AFA FF015981
	v_mul_f32_dpp v54, v129, v54 row_newbcast:10 row_mask:0xf bank_mask:0xf// 00000000424C: 0A6C6CFA FF015A81
	v_mul_f32_dpp v55, v129, v55 row_newbcast:11 row_mask:0xf bank_mask:0xf// 000000004254: 0A6E6EFA FF015B81
	v_pk_mul_f32 v[56:57], v[126:127], v[56:57]                // 00000000425C: D3B14038 1802717E
	v_pk_mul_f32 v[58:59], v[126:127], v[58:59]                // 000000004264: D3B1403A 1802757E
	v_mul_f32_dpp v56, v129, v56 row_newbcast:12 row_mask:0xf bank_mask:0xf// 00000000426C: 0A7070FA FF015C81
	v_mul_f32_dpp v57, v129, v57 row_newbcast:13 row_mask:0xf bank_mask:0xf// 000000004274: 0A7272FA FF015D81
	v_mul_f32_dpp v58, v129, v58 row_newbcast:14 row_mask:0xf bank_mask:0xf// 00000000427C: 0A7474FA FF015E81
	v_mul_f32_dpp v59, v129, v59 row_newbcast:15 row_mask:0xf bank_mask:0xf// 000000004284: 0A7676FA FF015F81
	v_mov_b32_e32 v150, v28                                    // 00000000428C: 7F2C031C
	v_max3_f32 v150, v28, v29, v150                            // 000000004290: D1D30096 065A3B1C
	v_max3_f32 v150, v30, v31, v150                            // 000000004298: D1D30096 065A3F1E
	v_max3_f32 v150, v32, v33, v150                            // 0000000042A0: D1D30096 065A4320
	v_max3_f32 v150, v34, v35, v150                            // 0000000042A8: D1D30096 065A4722
	v_max3_f32 v150, v36, v37, v150                            // 0000000042B0: D1D30096 065A4B24
	v_max3_f32 v150, v38, v39, v150                            // 0000000042B8: D1D30096 065A4F26
	v_max3_f32 v150, v40, v41, v150                            // 0000000042C0: D1D30096 065A5328
	v_max3_f32 v150, v42, v43, v150                            // 0000000042C8: D1D30096 065A572A
	v_mov_b32_e32 v151, v44                                    // 0000000042D0: 7F2E032C
	v_max3_f32 v151, v44, v45, v151                            // 0000000042D4: D1D30097 065E5B2C
	v_max3_f32 v151, v46, v47, v151                            // 0000000042DC: D1D30097 065E5F2E
	v_max3_f32 v151, v48, v49, v151                            // 0000000042E4: D1D30097 065E6330
	v_max3_f32 v151, v50, v51, v151                            // 0000000042EC: D1D30097 065E6732
	v_max3_f32 v151, v52, v53, v151                            // 0000000042F4: D1D30097 065E6B34
	v_max3_f32 v151, v54, v55, v151                            // 0000000042FC: D1D30097 065E6F36
	v_max3_f32 v151, v56, v57, v151                            // 000000004304: D1D30097 065E7338
	v_max3_f32 v151, v58, v59, v151                            // 00000000430C: D1D30097 065E773A
	ds_write_b64 v220, v[150:151]                              // 000000004314: D89A0000 000096DC
	v_pk_mul_f32 v[108:109], v[142:143], v[108:109]            // 00000000431C: D3B1406C 1802D98E
	v_pk_mul_f32 v[110:111], v[142:143], v[110:111]            // 000000004324: D3B1406E 1802DD8E
	v_pk_mul_f32 v[112:113], v[142:143], v[112:113]            // 00000000432C: D3B14070 1802E18E
	v_pk_mul_f32 v[114:115], v[142:143], v[114:115]            // 000000004334: D3B14072 1802E58E
	v_pk_mul_f32 v[116:117], v[144:145], v[116:117]            // 00000000433C: D3B14074 1802E990
	v_pk_mul_f32 v[118:119], v[144:145], v[118:119]            // 000000004344: D3B14076 1802ED90
	v_pk_mul_f32 v[120:121], v[144:145], v[120:121]            // 00000000434C: D3B14078 1802F190
	v_pk_mul_f32 v[122:123], v[144:145], v[122:123]            // 000000004354: D3B1407A 1802F590
	s_waitcnt lgkmcnt(0)                                       // 00000000435C: BF8CC07F
	s_barrier                                                  // 000000004360: BF8A0000
	ds_read_b64 v[154:155], v221                               // 000000004364: D8EC0000 9A0000DD
	ds_read_b64 v[156:157], v221 offset:128                    // 00000000436C: D8EC0080 9C0000DD
	ds_read_b64 v[158:159], v221 offset:256                    // 000000004374: D8EC0100 9E0000DD
	ds_read_b64 v[160:161], v221 offset:384                    // 00000000437C: D8EC0180 A00000DD
	ds_read_b64 v[162:163], v221 offset:512                    // 000000004384: D8EC0200 A20000DD
	ds_read_b64 v[164:165], v221 offset:640                    // 00000000438C: D8EC0280 A40000DD
	ds_read_b64 v[166:167], v221 offset:768                    // 000000004394: D8EC0300 A60000DD
	ds_read_b64 v[168:169], v221 offset:896                    // 00000000439C: D8EC0380 A80000DD
	ds_read_b64 v[170:171], v221 offset:1024                   // 0000000043A4: D8EC0400 AA0000DD
	ds_read_b64 v[172:173], v221 offset:1152                   // 0000000043AC: D8EC0480 AC0000DD
	ds_read_b64 v[174:175], v221 offset:1280                   // 0000000043B4: D8EC0500 AE0000DD
	ds_read_b64 v[176:177], v221 offset:1408                   // 0000000043BC: D8EC0580 B00000DD
	ds_read_b64 v[178:179], v221 offset:1536                   // 0000000043C4: D8EC0600 B20000DD
	ds_read_b64 v[180:181], v221 offset:1664                   // 0000000043CC: D8EC0680 B40000DD
	ds_read_b64 v[182:183], v221 offset:1792                   // 0000000043D4: D8EC0700 B60000DD
	ds_read_b64 v[184:185], v221 offset:1920                   // 0000000043DC: D8EC0780 B80000DD
	v_pk_mul_f32 v[92:93], v[132:133], v[92:93]                // 0000000043E4: D3B1405C 1802B984
	v_pk_mul_f32 v[94:95], v[132:133], v[94:95]                // 0000000043EC: D3B1405E 1802BD84
	v_pk_mul_f32 v[96:97], v[132:133], v[96:97]                // 0000000043F4: D3B14060 1802C184
	v_pk_mul_f32 v[98:99], v[132:133], v[98:99]                // 0000000043FC: D3B14062 1802C584
	v_pk_mul_f32 v[100:101], v[134:135], v[100:101]            // 000000004404: D3B14064 1802C986
	v_pk_mul_f32 v[102:103], v[134:135], v[102:103]            // 00000000440C: D3B14066 1802CD86
	v_pk_mul_f32 v[104:105], v[134:135], v[104:105]            // 000000004414: D3B14068 1802D186
	v_pk_mul_f32 v[106:107], v[134:135], v[106:107]            // 00000000441C: D3B1406A 1802D586
	s_waitcnt lgkmcnt(0)                                       // 000000004424: BF8CC07F
	v_max3_f32 v150, v154, v156, v150                          // 000000004428: D1D30096 065B399A
	v_max3_f32 v151, v155, v157, v151                          // 000000004430: D1D30097 065F3B9B
	v_max3_f32 v150, v158, v160, v150                          // 000000004438: D1D30096 065B419E
	v_max3_f32 v151, v159, v161, v151                          // 000000004440: D1D30097 065F439F
	v_max3_f32 v150, v162, v164, v150                          // 000000004448: D1D30096 065B49A2
	v_max3_f32 v151, v163, v165, v151                          // 000000004450: D1D30097 065F4BA3
	v_max3_f32 v150, v166, v168, v150                          // 000000004458: D1D30096 065B51A6
	v_max3_f32 v151, v167, v169, v151                          // 000000004460: D1D30097 065F53A7
	v_max3_f32 v150, v170, v172, v150                          // 000000004468: D1D30096 065B59AA
	v_max3_f32 v151, v171, v173, v151                          // 000000004470: D1D30097 065F5BAB
	v_max3_f32 v150, v174, v176, v150                          // 000000004478: D1D30096 065B61AE
	v_max3_f32 v151, v175, v177, v151                          // 000000004480: D1D30097 065F63AF
	v_max3_f32 v150, v178, v180, v150                          // 000000004488: D1D30096 065B69B2
	v_max3_f32 v151, v179, v181, v151                          // 000000004490: D1D30097 065F6BB3
	v_max3_f32 v150, v182, v184, v150                          // 000000004498: D1D30096 065B71B6
	v_max3_f32 v151, v183, v185, v151                          // 0000000044A0: D1D30097 065F73B7
	v_max_f32_e32 v140, v150, v138                             // 0000000044A8: 17191596
	v_mul_f32_e64 v186, -s46, v140                             // 0000000044AC: D10500BA 2003182E
	v_mov_b32_e32 v187, v186                                   // 0000000044B4: 7F7603BA
	v_pk_fma_f32 v[28:29], v[28:29], s[46:47], v[186:187]      // 0000000044B8: D3B0401C 1EE85D1C
	v_pk_fma_f32 v[30:31], v[30:31], s[46:47], v[186:187]      // 0000000044C0: D3B0401E 1EE85D1E
	v_exp_f32_e32 v28, v28                                     // 0000000044C8: 7E38411C
	v_exp_f32_e32 v29, v29                                     // 0000000044CC: 7E3A411D
	v_exp_f32_e32 v30, v30                                     // 0000000044D0: 7E3C411E
	v_exp_f32_e32 v31, v31                                     // 0000000044D4: 7E3E411F
	v_pk_fma_f32 v[32:33], v[32:33], s[46:47], v[186:187]      // 0000000044D8: D3B04020 1EE85D20
	v_pk_fma_f32 v[34:35], v[34:35], s[46:47], v[186:187]      // 0000000044E0: D3B04022 1EE85D22
	v_exp_f32_e32 v32, v32                                     // 0000000044E8: 7E404120
	v_exp_f32_e32 v33, v33                                     // 0000000044EC: 7E424121
	v_exp_f32_e32 v34, v34                                     // 0000000044F0: 7E444122
	v_exp_f32_e32 v35, v35                                     // 0000000044F4: 7E464123
	v_pk_fma_f32 v[36:37], v[36:37], s[46:47], v[186:187]      // 0000000044F8: D3B04024 1EE85D24
	v_pk_fma_f32 v[38:39], v[38:39], s[46:47], v[186:187]      // 000000004500: D3B04026 1EE85D26
	v_exp_f32_e32 v36, v36                                     // 000000004508: 7E484124
	v_exp_f32_e32 v37, v37                                     // 00000000450C: 7E4A4125
	v_exp_f32_e32 v38, v38                                     // 000000004510: 7E4C4126
	v_exp_f32_e32 v39, v39                                     // 000000004514: 7E4E4127
	v_pk_fma_f32 v[40:41], v[40:41], s[46:47], v[186:187]      // 000000004518: D3B04028 1EE85D28
	v_pk_fma_f32 v[42:43], v[42:43], s[46:47], v[186:187]      // 000000004520: D3B0402A 1EE85D2A
	v_exp_f32_e32 v40, v40                                     // 000000004528: 7E504128
	v_exp_f32_e32 v41, v41                                     // 00000000452C: 7E524129
	v_exp_f32_e32 v42, v42                                     // 000000004530: 7E54412A
	v_exp_f32_e32 v43, v43                                     // 000000004534: 7E56412B
	v_max_f32_e32 v141, v151, v139                             // 000000004538: 171B1797
	v_mul_f32_e64 v186, -s46, v141                             // 00000000453C: D10500BA 20031A2E
	v_mov_b32_e32 v187, v186                                   // 000000004544: 7F7603BA
	v_pk_fma_f32 v[44:45], v[44:45], s[46:47], v[186:187]      // 000000004548: D3B0402C 1EE85D2C
	v_pk_fma_f32 v[46:47], v[46:47], s[46:47], v[186:187]      // 000000004550: D3B0402E 1EE85D2E
	v_exp_f32_e32 v44, v44                                     // 000000004558: 7E58412C
	v_exp_f32_e32 v45, v45                                     // 00000000455C: 7E5A412D
	v_exp_f32_e32 v46, v46                                     // 000000004560: 7E5C412E
	v_exp_f32_e32 v47, v47                                     // 000000004564: 7E5E412F
	v_pk_fma_f32 v[48:49], v[48:49], s[46:47], v[186:187]      // 000000004568: D3B04030 1EE85D30
	v_pk_fma_f32 v[50:51], v[50:51], s[46:47], v[186:187]      // 000000004570: D3B04032 1EE85D32
	v_exp_f32_e32 v48, v48                                     // 000000004578: 7E604130
	v_exp_f32_e32 v49, v49                                     // 00000000457C: 7E624131
	v_exp_f32_e32 v50, v50                                     // 000000004580: 7E644132
	v_exp_f32_e32 v51, v51                                     // 000000004584: 7E664133
	v_pk_fma_f32 v[52:53], v[52:53], s[46:47], v[186:187]      // 000000004588: D3B04034 1EE85D34
	v_pk_fma_f32 v[54:55], v[54:55], s[46:47], v[186:187]      // 000000004590: D3B04036 1EE85D36
	v_exp_f32_e32 v52, v52                                     // 000000004598: 7E684134
	v_exp_f32_e32 v53, v53                                     // 00000000459C: 7E6A4135
	v_exp_f32_e32 v54, v54                                     // 0000000045A0: 7E6C4136
	v_exp_f32_e32 v55, v55                                     // 0000000045A4: 7E6E4137
	v_pk_fma_f32 v[56:57], v[56:57], s[46:47], v[186:187]      // 0000000045A8: D3B04038 1EE85D38
	v_pk_fma_f32 v[58:59], v[58:59], s[46:47], v[186:187]      // 0000000045B0: D3B0403A 1EE85D3A
	v_exp_f32_e32 v56, v56                                     // 0000000045B8: 7E704138
	v_exp_f32_e32 v57, v57                                     // 0000000045BC: 7E724139
	v_exp_f32_e32 v58, v58                                     // 0000000045C0: 7E74413A
	v_exp_f32_e32 v59, v59                                     // 0000000045C4: 7E76413B
	v_mul_f32_dpp v60, v131, v28 row_newbcast:0 row_mask:0xf bank_mask:0xf// 0000000045C8: 0A7838FA FF015083
	v_mul_f32_dpp v61, v131, v29 row_newbcast:1 row_mask:0xf bank_mask:0xf// 0000000045D0: 0A7A3AFA FF015183
	v_mul_f32_dpp v62, v131, v30 row_newbcast:2 row_mask:0xf bank_mask:0xf// 0000000045D8: 0A7C3CFA FF015283
	v_mul_f32_dpp v63, v131, v31 row_newbcast:3 row_mask:0xf bank_mask:0xf// 0000000045E0: 0A7E3EFA FF015383
	v_mul_f32_dpp v64, v131, v32 row_newbcast:4 row_mask:0xf bank_mask:0xf// 0000000045E8: 0A8040FA FF015483
	v_mul_f32_dpp v65, v131, v33 row_newbcast:5 row_mask:0xf bank_mask:0xf// 0000000045F0: 0A8242FA FF015583
	v_mul_f32_dpp v66, v131, v34 row_newbcast:6 row_mask:0xf bank_mask:0xf// 0000000045F8: 0A8444FA FF015683
	v_mul_f32_dpp v67, v131, v35 row_newbcast:7 row_mask:0xf bank_mask:0xf// 000000004600: 0A8646FA FF015783
	v_mul_f32_dpp v68, v131, v36 row_newbcast:8 row_mask:0xf bank_mask:0xf// 000000004608: 0A8848FA FF015883
	v_mul_f32_dpp v69, v131, v37 row_newbcast:9 row_mask:0xf bank_mask:0xf// 000000004610: 0A8A4AFA FF015983
	v_mul_f32_dpp v70, v131, v38 row_newbcast:10 row_mask:0xf bank_mask:0xf// 000000004618: 0A8C4CFA FF015A83
	v_mul_f32_dpp v71, v131, v39 row_newbcast:11 row_mask:0xf bank_mask:0xf// 000000004620: 0A8E4EFA FF015B83
	v_mul_f32_dpp v72, v131, v40 row_newbcast:12 row_mask:0xf bank_mask:0xf// 000000004628: 0A9050FA FF015C83
	v_mul_f32_dpp v73, v131, v41 row_newbcast:13 row_mask:0xf bank_mask:0xf// 000000004630: 0A9252FA FF015D83
	v_mul_f32_dpp v74, v131, v42 row_newbcast:14 row_mask:0xf bank_mask:0xf// 000000004638: 0A9454FA FF015E83
	v_mul_f32_dpp v75, v131, v43 row_newbcast:15 row_mask:0xf bank_mask:0xf// 000000004640: 0A9656FA FF015F83
	v_mul_f32_dpp v76, v131, v44 row_newbcast:0 row_mask:0xf bank_mask:0xf// 000000004648: 0A9858FA FF015083
	v_mul_f32_dpp v77, v131, v45 row_newbcast:1 row_mask:0xf bank_mask:0xf// 000000004650: 0A9A5AFA FF015183
	v_mul_f32_dpp v78, v131, v46 row_newbcast:2 row_mask:0xf bank_mask:0xf// 000000004658: 0A9C5CFA FF015283
	v_mul_f32_dpp v79, v131, v47 row_newbcast:3 row_mask:0xf bank_mask:0xf// 000000004660: 0A9E5EFA FF015383
	v_mul_f32_dpp v80, v131, v48 row_newbcast:4 row_mask:0xf bank_mask:0xf// 000000004668: 0AA060FA FF015483
	v_mul_f32_dpp v81, v131, v49 row_newbcast:5 row_mask:0xf bank_mask:0xf// 000000004670: 0AA262FA FF015583
	v_mul_f32_dpp v82, v131, v50 row_newbcast:6 row_mask:0xf bank_mask:0xf// 000000004678: 0AA464FA FF015683
	v_mul_f32_dpp v83, v131, v51 row_newbcast:7 row_mask:0xf bank_mask:0xf// 000000004680: 0AA666FA FF015783
	v_mul_f32_dpp v84, v131, v52 row_newbcast:8 row_mask:0xf bank_mask:0xf// 000000004688: 0AA868FA FF015883
	v_mul_f32_dpp v85, v131, v53 row_newbcast:9 row_mask:0xf bank_mask:0xf// 000000004690: 0AAA6AFA FF015983
	v_mul_f32_dpp v86, v131, v54 row_newbcast:10 row_mask:0xf bank_mask:0xf// 000000004698: 0AAC6CFA FF015A83
	v_mul_f32_dpp v87, v131, v55 row_newbcast:11 row_mask:0xf bank_mask:0xf// 0000000046A0: 0AAE6EFA FF015B83
	v_mul_f32_dpp v88, v131, v56 row_newbcast:12 row_mask:0xf bank_mask:0xf// 0000000046A8: 0AB070FA FF015C83
	v_mul_f32_dpp v89, v131, v57 row_newbcast:13 row_mask:0xf bank_mask:0xf// 0000000046B0: 0AB272FA FF015D83
	v_mul_f32_dpp v90, v131, v58 row_newbcast:14 row_mask:0xf bank_mask:0xf// 0000000046B8: 0AB474FA FF015E83
	v_mul_f32_dpp v91, v131, v59 row_newbcast:15 row_mask:0xf bank_mask:0xf// 0000000046C0: 0AB676FA FF015F83
	buffer_load_dword v128, v208, s[20:23], 0 offen            // 0000000046C8: E0501000 800580D0
	v_sub_f32_e32 v142, v138, v140                             // 0000000046D0: 051D198A
	v_cmp_eq_u32_e64 s[98:99], v197, v138                      // 0000000046D4: D0CA0062 000315C5
	v_cndmask_b32_e64 v142, v142, 0, s[98:99]                  // 0000000046DC: D100008E 0189018E
	v_mov_b32_e32 v138, v140                                   // 0000000046E4: 7F14038C
	v_mul_f32_e32 v142, s46, v142                              // 0000000046E8: 0B1D1C2E
	v_exp_f32_e32 v142, v142                                   // 0000000046EC: 7F1C418E
	v_sub_f32_e32 v144, v139, v141                             // 0000000046F0: 05211B8B
	v_cmp_eq_u32_e64 s[98:99], v197, v139                      // 0000000046F4: D0CA0062 000317C5
	v_cndmask_b32_e64 v144, v144, 0, s[98:99]                  // 0000000046FC: D1000090 01890190
	v_mov_b32_e32 v139, v141                                   // 000000004704: 7F16038D
	v_mul_f32_e32 v144, s46, v144                              // 000000004708: 0B21202E
	v_exp_f32_e32 v144, v144                                   // 00000000470C: 7F204190
	v_mov_b32_e32 v143, v142                                   // 000000004710: 7F1E038E
	v_mov_b32_e32 v145, v144                                   // 000000004714: 7F220390
	buffer_load_dword v130, v209, s[24:27], 0 offen            // 000000004718: E0501000 800682D1
	s_waitcnt lgkmcnt(0)                                       // 000000004720: BF8CC07F
	s_barrier                                                  // 000000004724: BF8A0000
	v_mul_f32_e32 v146, v142, v146                             // 000000004728: 0B25258E
	v_mov_b32_e32 v147, 0                                      // 00000000472C: 7F260280
	v_pk_add_f32 v[146:147], v[28:29], v[146:147]              // 000000004730: D3B24092 1803251C
	v_pk_add_f32 v[146:147], v[30:31], v[146:147]              // 000000004738: D3B24092 1803251E
	v_pk_add_f32 v[146:147], v[32:33], v[146:147]              // 000000004740: D3B24092 18032520
	v_pk_add_f32 v[146:147], v[34:35], v[146:147]              // 000000004748: D3B24092 18032522
	;; [unrolled: 1-line block ×5, first 2 shown]
	v_pk_add_f32 v[146:147], v[42:43], v[146:147]              // 000000004768: D3B24092 1803252A
	v_add_f32_e32 v146, v147, v146                             // 000000004770: 03252593
	v_mul_f32_e32 v148, v144, v148                             // 000000004774: 0B292990
	v_mov_b32_e32 v149, 0                                      // 000000004778: 7F2A0280
	v_pk_add_f32 v[148:149], v[44:45], v[148:149]              // 00000000477C: D3B24094 1803292C
	v_pk_add_f32 v[148:149], v[46:47], v[148:149]              // 000000004784: D3B24094 1803292E
	v_pk_add_f32 v[148:149], v[48:49], v[148:149]              // 00000000478C: D3B24094 18032930
	v_pk_add_f32 v[148:149], v[50:51], v[148:149]              // 000000004794: D3B24094 18032932
	v_pk_add_f32 v[148:149], v[52:53], v[148:149]              // 00000000479C: D3B24094 18032934
	v_pk_add_f32 v[148:149], v[54:55], v[148:149]              // 0000000047A4: D3B24094 18032936
	v_pk_add_f32 v[148:149], v[56:57], v[148:149]              // 0000000047AC: D3B24094 18032938
	v_pk_add_f32 v[148:149], v[58:59], v[148:149]              // 0000000047B4: D3B24094 1803293A
	v_add_f32_e32 v148, v149, v148                             // 0000000047BC: 03292995
	s_waitcnt lgkmcnt(0)                                       // 0000000047C0: BF8CC07F
	v_sub_f32_e32 v150, v150, v138                             // 0000000047C4: 052D1596
	v_sub_f32_e32 v151, v151, v139                             // 0000000047C8: 052F1797
	v_mul_f32_e32 v150, s46, v150                              // 0000000047CC: 0B2D2C2E
	v_mul_f32_e32 v151, s46, v151                              // 0000000047D0: 0B2F2E2E
	v_exp_f32_e32 v150, v150                                   // 0000000047D4: 7F2C4196
	v_exp_f32_e32 v151, v151                                   // 0000000047D8: 7F2E4197
	v_mul_f32_e32 v150, v131, v150                             // 0000000047DC: 0B2D2D83
	v_mul_f32_e32 v151, v131, v151                             // 0000000047E0: 0B2F2F83
	v_add_f32_e32 v150, 0x3089705f, v150                       // 0000000047E4: 032D2CFF 3089705F
	v_add_f32_e32 v151, 0x3089705f, v151                       // 0000000047EC: 032F2EFF 3089705F
	v_rcp_f32_e32 v150, v150                                   // 0000000047F4: 7F2C4596
	v_rcp_f32_e32 v151, v151                                   // 0000000047F8: 7F2E4597
	v_mul_f32_e32 v150, 0x43700000, v150                       // 0000000047FC: 0B2D2CFF 43700000
	v_mul_f32_e32 v151, 0x43700000, v151                       // 000000004804: 0B2F2EFF 43700000
	v_mov_b32_e32 v152, v151                                   // 00000000480C: 7F300397
	v_mov_b32_e32 v153, v151                                   // 000000004810: 7F320397
	v_mov_b32_e32 v151, v150                                   // 000000004814: 7F2E0396
	v_pk_mul_f32 v[28:29], v[150:151], v[60:61]                // 000000004818: D3B1401C 18027996
	v_pk_mul_f32 v[30:31], v[150:151], v[62:63]                // 000000004820: D3B1401E 18027D96
	v_pk_mul_f32 v[32:33], v[150:151], v[64:65]                // 000000004828: D3B14020 18028196
	v_pk_mul_f32 v[34:35], v[150:151], v[66:67]                // 000000004830: D3B14022 18028596
	v_pk_mul_f32 v[36:37], v[150:151], v[68:69]                // 000000004838: D3B14024 18028996
	v_pk_mul_f32 v[38:39], v[150:151], v[70:71]                // 000000004840: D3B14026 18028D96
	v_pk_mul_f32 v[40:41], v[150:151], v[72:73]                // 000000004848: D3B14028 18029196
	v_pk_mul_f32 v[42:43], v[150:151], v[74:75]                // 000000004850: D3B1402A 18029596
	v_pk_mul_f32 v[44:45], v[152:153], v[76:77]                // 000000004858: D3B1402C 18029998
	v_pk_mul_f32 v[46:47], v[152:153], v[78:79]                // 000000004860: D3B1402E 18029D98
	v_pk_mul_f32 v[48:49], v[152:153], v[80:81]                // 000000004868: D3B14030 1802A198
	v_pk_mul_f32 v[50:51], v[152:153], v[82:83]                // 000000004870: D3B14032 1802A598
	v_pk_mul_f32 v[52:53], v[152:153], v[84:85]                // 000000004878: D3B14034 1802A998
	v_pk_mul_f32 v[54:55], v[152:153], v[86:87]                // 000000004880: D3B14036 1802AD98
	v_pk_mul_f32 v[56:57], v[152:153], v[88:89]                // 000000004888: D3B14038 1802B198
	v_pk_mul_f32 v[58:59], v[152:153], v[90:91]                // 000000004890: D3B1403A 1802B598
	v_cvt_pk_fp8_f32 v28, v28, v29                             // 000000004898: D2A2001C 00023B1C
	v_cvt_pk_fp8_f32 v28, v30, v31 op_sel:[0,0,1]              // 0000000048A0: D2A2401C 00023F1E
	v_cvt_pk_fp8_f32 v29, v32, v33                             // 0000000048A8: D2A2001D 00024320
	v_cvt_pk_fp8_f32 v29, v34, v35 op_sel:[0,0,1]              // 0000000048B0: D2A2401D 00024722
	v_cvt_pk_fp8_f32 v30, v36, v37                             // 0000000048B8: D2A2001E 00024B24
	v_cvt_pk_fp8_f32 v30, v38, v39 op_sel:[0,0,1]              // 0000000048C0: D2A2401E 00024F26
	v_cvt_pk_fp8_f32 v31, v40, v41                             // 0000000048C8: D2A2001F 00025328
	v_cvt_pk_fp8_f32 v31, v42, v43 op_sel:[0,0,1]              // 0000000048D0: D2A2401F 0002572A
	v_cvt_pk_fp8_f32 v32, v44, v45                             // 0000000048D8: D2A20020 00025B2C
	v_cvt_pk_fp8_f32 v32, v46, v47 op_sel:[0,0,1]              // 0000000048E0: D2A24020 00025F2E
	v_cvt_pk_fp8_f32 v33, v48, v49                             // 0000000048E8: D2A20021 00026330
	v_cvt_pk_fp8_f32 v33, v50, v51 op_sel:[0,0,1]              // 0000000048F0: D2A24021 00026732
	v_cvt_pk_fp8_f32 v34, v52, v53                             // 0000000048F8: D2A20022 00026B34
	v_cvt_pk_fp8_f32 v34, v54, v55 op_sel:[0,0,1]              // 000000004900: D2A24022 00026F36
	v_cvt_pk_fp8_f32 v35, v56, v57                             // 000000004908: D2A20023 00027338
	v_cvt_pk_fp8_f32 v35, v58, v59 op_sel:[0,0,1]              // 000000004910: D2A24023 0002773A
	ds_write_b32 v222, v28 offset:4608                         // 000000004918: D81A1200 00001CDE
	ds_write_b32 v222, v29 offset:5632                         // 000000004920: D81A1600 00001DDE
	ds_write_b32 v222, v30 offset:6656                         // 000000004928: D81A1A00 00001EDE
	ds_write_b32 v222, v31 offset:7680                         // 000000004930: D81A1E00 00001FDE
	ds_write_b32 v222, v32 offset:8704                         // 000000004938: D81A2200 000020DE
	ds_write_b32 v222, v33 offset:9728                         // 000000004940: D81A2600 000021DE
	ds_write_b32 v222, v34 offset:10752                        // 000000004948: D81A2A00 000022DE
	ds_write_b32 v222, v35 offset:11776                        // 000000004950: D81A2E00 000023DE
	v_rcp_f32_e32 v132, v150                                   // 000000004958: 7F084596
	v_rcp_f32_e32 v134, v152                                   // 00000000495C: 7F0C4598
	v_mov_b32_e32 v133, v132                                   // 000000004960: 7F0A0384
	v_mov_b32_e32 v135, v134                                   // 000000004964: 7F0E0386
	v_pk_add_f32 v[108:109], v[108:109], v[92:93]              // 000000004968: D3B2406C 1802B96C
	v_pk_add_f32 v[110:111], v[110:111], v[94:95]              // 000000004970: D3B2406E 1802BD6E
	v_pk_add_f32 v[112:113], v[112:113], v[96:97]              // 000000004978: D3B24070 1802C170
	v_pk_add_f32 v[114:115], v[114:115], v[98:99]              // 000000004980: D3B24072 1802C572
	v_pk_add_f32 v[116:117], v[116:117], v[100:101]            // 000000004988: D3B24074 1802C974
	v_pk_add_f32 v[118:119], v[118:119], v[102:103]            // 000000004990: D3B24076 1802CD76
	v_pk_add_f32 v[120:121], v[120:121], v[104:105]            // 000000004998: D3B24078 1802D178
	v_pk_add_f32 v[122:123], v[122:123], v[106:107]            // 0000000049A0: D3B2407A 1802D57A
	s_waitcnt lgkmcnt(0)                                       // 0000000049A8: BF8CC07F
	s_barrier                                                  // 0000000049AC: BF8A0000
	ds_read_b128 v[28:31], v223 offset:4608                    // 0000000049B0: D9FE1200 1C0000DF
	ds_read_b128 v[32:35], v223 offset:5632                    // 0000000049B8: D9FE1600 200000DF
	ds_read_b128 v[36:39], v223 offset:6656                    // 0000000049C0: D9FE1A00 240000DF
	ds_read_b128 v[40:43], v223 offset:7680                    // 0000000049C8: D9FE1E00 280000DF
	ds_read_b128 v[44:47], v223 offset:8704                    // 0000000049D0: D9FE2200 2C0000DF
	ds_read_b128 v[48:51], v223 offset:9728                    // 0000000049D8: D9FE2600 300000DF
	ds_read_b128 v[52:55], v223 offset:10752                   // 0000000049E0: D9FE2A00 340000DF
	ds_read_b128 v[56:59], v223 offset:11776                   // 0000000049E8: D9FE2E00 380000DF
	s_waitcnt vmcnt(10)                                        // 0000000049F0: BF8C0F7A
	s_waitcnt lgkmcnt(7)                                       // 0000000049F4: BF8CC77F
	v_mfma_f32_16x16x32_fp8_fp8 v[92:95], a[96:97], v[28:29], 0// 0000000049F8: D3F3005C 0A023960
	v_mfma_f32_16x16x32_fp8_fp8 v[96:99], a[112:113], v[28:29], 0// 000000004A00: D3F30060 0A023970
	v_mfma_f32_16x16x32_fp8_fp8 v[92:95], a[98:99], v[30:31], v[92:95]// 000000004A08: D3F3005C 0D723D62
	buffer_load_dwordx4 a[64:67], v204, s[16:19], 0 offen      // 000000004A10: E05C1000 808440CC
	v_mfma_f32_16x16x32_fp8_fp8 v[96:99], a[114:115], v[30:31], v[96:99]// 000000004A18: D3F30060 0D823D72
	s_waitcnt lgkmcnt(6)                                       // 000000004A20: BF8CC67F
	v_mfma_f32_16x16x32_fp8_fp8 v[92:95], a[100:101], v[32:33], v[92:95]// 000000004A24: D3F3005C 0D724164
	v_mfma_f32_16x16x32_fp8_fp8 v[96:99], a[116:117], v[32:33], v[96:99]// 000000004A2C: D3F30060 0D824174
	v_mfma_f32_16x16x32_fp8_fp8 v[92:95], a[102:103], v[34:35], v[92:95]// 000000004A34: D3F3005C 0D724566
	buffer_load_dwordx4 a[68:71], v205, s[16:19], 0 offen      // 000000004A3C: E05C1000 808444CD
	v_mfma_f32_16x16x32_fp8_fp8 v[96:99], a[118:119], v[34:35], v[96:99]// 000000004A44: D3F30060 0D824576
	s_waitcnt lgkmcnt(5)                                       // 000000004A4C: BF8CC57F
	v_mfma_f32_16x16x32_fp8_fp8 v[92:95], a[104:105], v[36:37], v[92:95]// 000000004A50: D3F3005C 0D724968
	v_mfma_f32_16x16x32_fp8_fp8 v[96:99], a[120:121], v[36:37], v[96:99]// 000000004A58: D3F30060 0D824978
	v_mfma_f32_16x16x32_fp8_fp8 v[92:95], a[106:107], v[38:39], v[92:95]// 000000004A60: D3F3005C 0D724D6A
	buffer_load_dwordx4 a[72:75], v206, s[16:19], 0 offen      // 000000004A68: E05C1000 808448CE
	v_mfma_f32_16x16x32_fp8_fp8 v[96:99], a[122:123], v[38:39], v[96:99]// 000000004A70: D3F30060 0D824D7A
	s_waitcnt lgkmcnt(4)                                       // 000000004A78: BF8CC47F
	v_mfma_f32_16x16x32_fp8_fp8 v[92:95], a[108:109], v[40:41], v[92:95]// 000000004A7C: D3F3005C 0D72516C
	v_mfma_f32_16x16x32_fp8_fp8 v[96:99], a[124:125], v[40:41], v[96:99]// 000000004A84: D3F30060 0D82517C
	v_mfma_f32_16x16x32_fp8_fp8 v[92:95], a[110:111], v[42:43], v[92:95]// 000000004A8C: D3F3005C 0D72556E
	buffer_load_dwordx4 a[76:79], v207, s[16:19], 0 offen      // 000000004A94: E05C1000 80844CCF
	v_mfma_f32_16x16x32_fp8_fp8 v[96:99], a[126:127], v[42:43], v[96:99]// 000000004A9C: D3F30060 0D82557E
	s_waitcnt lgkmcnt(3)                                       // 000000004AA4: BF8CC37F
	v_mfma_f32_16x16x32_fp8_fp8 v[100:103], a[96:97], v[44:45], 0// 000000004AA8: D3F30064 0A025960
	v_mfma_f32_16x16x32_fp8_fp8 v[104:107], a[112:113], v[44:45], 0// 000000004AB0: D3F30068 0A025970
	v_mfma_f32_16x16x32_fp8_fp8 v[100:103], a[98:99], v[46:47], v[100:103]// 000000004AB8: D3F30064 0D925D62
	buffer_load_dwordx4 a[80:83], v204, s[16:19], 0 offen offset:1024// 000000004AC0: E05C1400 808450CC
	v_mfma_f32_16x16x32_fp8_fp8 v[104:107], a[114:115], v[46:47], v[104:107]// 000000004AC8: D3F30068 0DA25D72
	s_waitcnt lgkmcnt(2)                                       // 000000004AD0: BF8CC27F
	v_mfma_f32_16x16x32_fp8_fp8 v[100:103], a[100:101], v[48:49], v[100:103]// 000000004AD4: D3F30064 0D926164
	v_mfma_f32_16x16x32_fp8_fp8 v[104:107], a[116:117], v[48:49], v[104:107]// 000000004ADC: D3F30068 0DA26174
	v_mfma_f32_16x16x32_fp8_fp8 v[100:103], a[102:103], v[50:51], v[100:103]// 000000004AE4: D3F30064 0D926566
	buffer_load_dwordx4 a[84:87], v205, s[16:19], 0 offen offset:1024// 000000004AEC: E05C1400 808454CD
	v_mfma_f32_16x16x32_fp8_fp8 v[104:107], a[118:119], v[50:51], v[104:107]// 000000004AF4: D3F30068 0DA26576
	s_waitcnt lgkmcnt(1)                                       // 000000004AFC: BF8CC17F
	v_mfma_f32_16x16x32_fp8_fp8 v[100:103], a[104:105], v[52:53], v[100:103]// 000000004B00: D3F30064 0D926968
	v_mfma_f32_16x16x32_fp8_fp8 v[104:107], a[120:121], v[52:53], v[104:107]// 000000004B08: D3F30068 0DA26978
	v_mfma_f32_16x16x32_fp8_fp8 v[100:103], a[106:107], v[54:55], v[100:103]// 000000004B10: D3F30064 0D926D6A
	buffer_load_dwordx4 a[88:91], v206, s[16:19], 0 offen offset:1024// 000000004B18: E05C1400 808458CE
	v_mfma_f32_16x16x32_fp8_fp8 v[104:107], a[122:123], v[54:55], v[104:107]// 000000004B20: D3F30068 0DA26D7A
	s_waitcnt lgkmcnt(0)                                       // 000000004B28: BF8CC07F
	v_mfma_f32_16x16x32_fp8_fp8 v[100:103], a[108:109], v[56:57], v[100:103]// 000000004B2C: D3F30064 0D92716C
	v_mfma_f32_16x16x32_fp8_fp8 v[104:107], a[124:125], v[56:57], v[104:107]// 000000004B34: D3F30068 0DA2717C
	v_mfma_f32_16x16x32_fp8_fp8 v[100:103], a[110:111], v[58:59], v[100:103]// 000000004B3C: D3F30064 0D92756E
	buffer_load_dwordx4 a[92:95], v207, s[16:19], 0 offen offset:1024// 000000004B44: E05C1400 80845CCF
	v_mfma_f32_16x16x32_fp8_fp8 v[104:107], a[126:127], v[58:59], v[104:107]// 000000004B4C: D3F30068 0DA2757E
	s_addk_i32 s64, 0x100                                      // 000000004B54: B7400100
	s_cmp_lt_i32 s64, s63                                      // 000000004B58: BF043F40
	s_cbranch_scc0 label_262A                                  // 000000004B5C: BF841CD2
	s_waitcnt vmcnt(10)                                        // 000000004B60: BF8C0F7A
	v_mfma_f32_16x16x32_fp8_fp8 v[28:31], a[0:1], v[12:13], 0  // 000000004B64: D3F3001C 0A021900
	s_add_u32 s12, s86, s69                                    // 000000004B6C: 800C4556
	s_addc_u32 s13, s87, 0                                     // 000000004B70: 820D8057
	v_mfma_f32_16x16x32_fp8_fp8 v[28:31], a[2:3], v[14:15], v[28:31]// 000000004B74: D3F3001C 0C721D02
	s_add_u32 s16, s88, s70                                    // 000000004B7C: 80104658
	s_addc_u32 s17, s89, 0                                     // 000000004B80: 82118059
	v_mfma_f32_16x16x32_fp8_fp8 v[28:31], a[4:5], v[16:17], v[28:31]// 000000004B84: D3F3001C 0C722104
	buffer_load_dwordx4 a[32:35], v202, s[12:15], 0 offen      // 000000004B8C: E05C1000 808320CA
	v_mfma_f32_16x16x32_fp8_fp8 v[28:31], a[6:7], v[18:19], v[28:31]// 000000004B94: D3F3001C 0C722506
	s_add_u32 s20, s90, s71                                    // 000000004B9C: 8014475A
	s_addc_u32 s21, s91, 0                                     // 000000004BA0: 8215805B
	v_mfma_f32_16x16x32_fp8_fp8 v[32:35], a[8:9], v[12:13], 0  // 000000004BA4: D3F30020 0A021908
	s_add_u32 s24, s92, s71                                    // 000000004BAC: 8018475C
	s_addc_u32 s25, s93, 0                                     // 000000004BB0: 8219805D
	v_mfma_f32_16x16x32_fp8_fp8 v[32:35], a[10:11], v[14:15], v[32:35]// 000000004BB4: D3F30020 0C821D0A
	s_mul_i32 s69, s59, s50                                    // 000000004BBC: 9245323B
	s_mul_i32 s71, s59, s66                                    // 000000004BC0: 9247423B
	v_mfma_f32_16x16x32_fp8_fp8 v[32:35], a[12:13], v[16:17], v[32:35]// 000000004BC4: D3F30020 0C82210C
	buffer_load_dwordx4 a[36:39], v203, s[12:15], 0 offen      // 000000004BCC: E05C1000 808324CB
	v_mfma_f32_16x16x32_fp8_fp8 v[32:35], a[14:15], v[18:19], v[32:35]// 000000004BD4: D3F30020 0C82250E
	s_mul_i32 s54, s78, s51                                    // 000000004BDC: 9236334E
	s_add_u32 s69, s69, s54                                    // 000000004BE0: 80453645
	v_mfma_f32_16x16x32_fp8_fp8 v[36:39], a[16:17], v[12:13], 0// 000000004BE4: D3F30024 0A021910
	s_mov_b32 s70, s69                                         // 000000004BEC: BEC60045
	v_mfma_f32_16x16x32_fp8_fp8 v[36:39], a[18:19], v[14:15], v[36:39]// 000000004BF0: D3F30024 0C921D12
	s_mul_i32 s54, s78, 4                                      // 000000004BF8: 9236844E
	s_add_u32 s71, s71, s54                                    // 000000004BFC: 80473647
	v_mfma_f32_16x16x32_fp8_fp8 v[36:39], a[20:21], v[16:17], v[36:39]// 000000004C00: D3F30024 0C922114
	buffer_load_dwordx4 a[40:43], v202, s[12:15], 0 offen offset:1024// 000000004C08: E05C1400 808328CA
	v_mfma_f32_16x16x32_fp8_fp8 v[36:39], a[22:23], v[18:19], v[36:39]// 000000004C10: D3F30024 0C922516
	v_mfma_f32_16x16x32_fp8_fp8 v[40:43], a[24:25], v[12:13], 0// 000000004C18: D3F30028 0A021918
	v_mfma_f32_16x16x32_fp8_fp8 v[40:43], a[26:27], v[14:15], v[40:43]// 000000004C20: D3F30028 0CA21D1A
	v_mfma_f32_16x16x32_fp8_fp8 v[40:43], a[28:29], v[16:17], v[40:43]// 000000004C28: D3F30028 0CA2211C
	buffer_load_dwordx4 a[44:47], v203, s[12:15], 0 offen offset:1024// 000000004C30: E05C1400 80832CCB
	v_mfma_f32_16x16x32_fp8_fp8 v[40:43], a[30:31], v[18:19], v[40:43]// 000000004C38: D3F30028 0CA2251E
	v_mfma_f32_16x16x32_fp8_fp8 v[44:47], a[0:1], v[20:21], 0  // 000000004C40: D3F3002C 0A022900
	v_mfma_f32_16x16x32_fp8_fp8 v[44:47], a[2:3], v[22:23], v[44:47]// 000000004C48: D3F3002C 0CB22D02
	v_mfma_f32_16x16x32_fp8_fp8 v[44:47], a[4:5], v[24:25], v[44:47]// 000000004C50: D3F3002C 0CB23104
	buffer_load_dwordx4 a[48:51], v202, s[12:15], 0 offen offset:2048// 000000004C58: E05C1800 808330CA
	v_mfma_f32_16x16x32_fp8_fp8 v[44:47], a[6:7], v[26:27], v[44:47]// 000000004C60: D3F3002C 0CB23506
	v_mfma_f32_16x16x32_fp8_fp8 v[48:51], a[8:9], v[20:21], 0  // 000000004C68: D3F30030 0A022908
	v_mfma_f32_16x16x32_fp8_fp8 v[48:51], a[10:11], v[22:23], v[48:51]// 000000004C70: D3F30030 0CC22D0A
	v_mfma_f32_16x16x32_fp8_fp8 v[48:51], a[12:13], v[24:25], v[48:51]// 000000004C78: D3F30030 0CC2310C
	buffer_load_dwordx4 a[52:55], v203, s[12:15], 0 offen offset:2048// 000000004C80: E05C1800 808334CB
	v_mfma_f32_16x16x32_fp8_fp8 v[48:51], a[14:15], v[26:27], v[48:51]// 000000004C88: D3F30030 0CC2350E
	v_mfma_f32_16x16x32_fp8_fp8 v[52:55], a[16:17], v[20:21], 0// 000000004C90: D3F30034 0A022910
	v_mfma_f32_16x16x32_fp8_fp8 v[52:55], a[18:19], v[22:23], v[52:55]// 000000004C98: D3F30034 0CD22D12
	v_mfma_f32_16x16x32_fp8_fp8 v[52:55], a[20:21], v[24:25], v[52:55]// 000000004CA0: D3F30034 0CD23114
	buffer_load_dwordx4 a[56:59], v202, s[12:15], 0 offen offset:3072// 000000004CA8: E05C1C00 808338CA
	v_mfma_f32_16x16x32_fp8_fp8 v[52:55], a[22:23], v[26:27], v[52:55]// 000000004CB0: D3F30034 0CD23516
	v_mfma_f32_16x16x32_fp8_fp8 v[56:59], a[24:25], v[20:21], 0// 000000004CB8: D3F30038 0A022918
	v_mfma_f32_16x16x32_fp8_fp8 v[56:59], a[26:27], v[22:23], v[56:59]// 000000004CC0: D3F30038 0CE22D1A
	v_mfma_f32_16x16x32_fp8_fp8 v[56:59], a[28:29], v[24:25], v[56:59]// 000000004CC8: D3F30038 0CE2311C
	buffer_load_dwordx4 a[60:63], v203, s[12:15], 0 offen offset:3072// 000000004CD0: E05C1C00 80833CCB
	v_mfma_f32_16x16x32_fp8_fp8 v[56:59], a[30:31], v[26:27], v[56:59]// 000000004CD8: D3F30038 0CE2351E
	s_waitcnt vmcnt(16)                                        // 000000004CE0: BF8C4F70
	v_pk_mul_f32 v[28:29], v[124:125], v[28:29]                // 000000004CE4: D3B1401C 1802397C
	v_pk_mul_f32 v[30:31], v[124:125], v[30:31]                // 000000004CEC: D3B1401E 18023D7C
	v_mul_f32_dpp v28, v128, v28 row_newbcast:0 row_mask:0xf bank_mask:0xf// 000000004CF4: 0A3838FA FF015080
	v_mul_f32_dpp v29, v128, v29 row_newbcast:1 row_mask:0xf bank_mask:0xf// 000000004CFC: 0A3A3AFA FF015180
	v_mul_f32_dpp v30, v128, v30 row_newbcast:2 row_mask:0xf bank_mask:0xf// 000000004D04: 0A3C3CFA FF015280
	v_mul_f32_dpp v31, v128, v31 row_newbcast:3 row_mask:0xf bank_mask:0xf// 000000004D0C: 0A3E3EFA FF015380
	v_pk_mul_f32 v[32:33], v[124:125], v[32:33]                // 000000004D14: D3B14020 1802417C
	v_pk_mul_f32 v[34:35], v[124:125], v[34:35]                // 000000004D1C: D3B14022 1802457C
	v_mul_f32_dpp v32, v128, v32 row_newbcast:4 row_mask:0xf bank_mask:0xf// 000000004D24: 0A4040FA FF015480
	v_mul_f32_dpp v33, v128, v33 row_newbcast:5 row_mask:0xf bank_mask:0xf// 000000004D2C: 0A4242FA FF015580
	v_mul_f32_dpp v34, v128, v34 row_newbcast:6 row_mask:0xf bank_mask:0xf// 000000004D34: 0A4444FA FF015680
	v_mul_f32_dpp v35, v128, v35 row_newbcast:7 row_mask:0xf bank_mask:0xf// 000000004D3C: 0A4646FA FF015780
	v_pk_mul_f32 v[36:37], v[124:125], v[36:37]                // 000000004D44: D3B14024 1802497C
	v_pk_mul_f32 v[38:39], v[124:125], v[38:39]                // 000000004D4C: D3B14026 18024D7C
	v_mul_f32_dpp v36, v128, v36 row_newbcast:8 row_mask:0xf bank_mask:0xf// 000000004D54: 0A4848FA FF015880
	v_mul_f32_dpp v37, v128, v37 row_newbcast:9 row_mask:0xf bank_mask:0xf// 000000004D5C: 0A4A4AFA FF015980
	v_mul_f32_dpp v38, v128, v38 row_newbcast:10 row_mask:0xf bank_mask:0xf// 000000004D64: 0A4C4CFA FF015A80
	v_mul_f32_dpp v39, v128, v39 row_newbcast:11 row_mask:0xf bank_mask:0xf// 000000004D6C: 0A4E4EFA FF015B80
	v_pk_mul_f32 v[40:41], v[124:125], v[40:41]                // 000000004D74: D3B14028 1802517C
	v_pk_mul_f32 v[42:43], v[124:125], v[42:43]                // 000000004D7C: D3B1402A 1802557C
	v_mul_f32_dpp v40, v128, v40 row_newbcast:12 row_mask:0xf bank_mask:0xf// 000000004D84: 0A5050FA FF015C80
	v_mul_f32_dpp v41, v128, v41 row_newbcast:13 row_mask:0xf bank_mask:0xf// 000000004D8C: 0A5252FA FF015D80
	v_mul_f32_dpp v42, v128, v42 row_newbcast:14 row_mask:0xf bank_mask:0xf// 000000004D94: 0A5454FA FF015E80
	v_mul_f32_dpp v43, v128, v43 row_newbcast:15 row_mask:0xf bank_mask:0xf// 000000004D9C: 0A5656FA FF015F80
	v_pk_mul_f32 v[44:45], v[126:127], v[44:45]                // 000000004DA4: D3B1402C 1802597E
	v_pk_mul_f32 v[46:47], v[126:127], v[46:47]                // 000000004DAC: D3B1402E 18025D7E
	v_mul_f32_dpp v44, v128, v44 row_newbcast:0 row_mask:0xf bank_mask:0xf// 000000004DB4: 0A5858FA FF015080
	v_mul_f32_dpp v45, v128, v45 row_newbcast:1 row_mask:0xf bank_mask:0xf// 000000004DBC: 0A5A5AFA FF015180
	v_mul_f32_dpp v46, v128, v46 row_newbcast:2 row_mask:0xf bank_mask:0xf// 000000004DC4: 0A5C5CFA FF015280
	v_mul_f32_dpp v47, v128, v47 row_newbcast:3 row_mask:0xf bank_mask:0xf// 000000004DCC: 0A5E5EFA FF015380
	v_pk_mul_f32 v[48:49], v[126:127], v[48:49]                // 000000004DD4: D3B14030 1802617E
	v_pk_mul_f32 v[50:51], v[126:127], v[50:51]                // 000000004DDC: D3B14032 1802657E
	v_mul_f32_dpp v48, v128, v48 row_newbcast:4 row_mask:0xf bank_mask:0xf// 000000004DE4: 0A6060FA FF015480
	v_mul_f32_dpp v49, v128, v49 row_newbcast:5 row_mask:0xf bank_mask:0xf// 000000004DEC: 0A6262FA FF015580
	v_mul_f32_dpp v50, v128, v50 row_newbcast:6 row_mask:0xf bank_mask:0xf// 000000004DF4: 0A6464FA FF015680
	v_mul_f32_dpp v51, v128, v51 row_newbcast:7 row_mask:0xf bank_mask:0xf// 000000004DFC: 0A6666FA FF015780
	v_pk_mul_f32 v[52:53], v[126:127], v[52:53]                // 000000004E04: D3B14034 1802697E
	v_pk_mul_f32 v[54:55], v[126:127], v[54:55]                // 000000004E0C: D3B14036 18026D7E
	v_mul_f32_dpp v52, v128, v52 row_newbcast:8 row_mask:0xf bank_mask:0xf// 000000004E14: 0A6868FA FF015880
	v_mul_f32_dpp v53, v128, v53 row_newbcast:9 row_mask:0xf bank_mask:0xf// 000000004E1C: 0A6A6AFA FF015980
	v_mul_f32_dpp v54, v128, v54 row_newbcast:10 row_mask:0xf bank_mask:0xf// 000000004E24: 0A6C6CFA FF015A80
	v_mul_f32_dpp v55, v128, v55 row_newbcast:11 row_mask:0xf bank_mask:0xf// 000000004E2C: 0A6E6EFA FF015B80
	v_pk_mul_f32 v[56:57], v[126:127], v[56:57]                // 000000004E34: D3B14038 1802717E
	v_pk_mul_f32 v[58:59], v[126:127], v[58:59]                // 000000004E3C: D3B1403A 1802757E
	v_mul_f32_dpp v56, v128, v56 row_newbcast:12 row_mask:0xf bank_mask:0xf// 000000004E44: 0A7070FA FF015C80
	v_mul_f32_dpp v57, v128, v57 row_newbcast:13 row_mask:0xf bank_mask:0xf// 000000004E4C: 0A7272FA FF015D80
	v_mul_f32_dpp v58, v128, v58 row_newbcast:14 row_mask:0xf bank_mask:0xf// 000000004E54: 0A7474FA FF015E80
	v_mul_f32_dpp v59, v128, v59 row_newbcast:15 row_mask:0xf bank_mask:0xf// 000000004E5C: 0A7676FA FF015F80
	v_mov_b32_e32 v150, v28                                    // 000000004E64: 7F2C031C
	v_max3_f32 v150, v28, v29, v150                            // 000000004E68: D1D30096 065A3B1C
	v_max3_f32 v150, v30, v31, v150                            // 000000004E70: D1D30096 065A3F1E
	v_max3_f32 v150, v32, v33, v150                            // 000000004E78: D1D30096 065A4320
	v_max3_f32 v150, v34, v35, v150                            // 000000004E80: D1D30096 065A4722
	v_max3_f32 v150, v36, v37, v150                            // 000000004E88: D1D30096 065A4B24
	v_max3_f32 v150, v38, v39, v150                            // 000000004E90: D1D30096 065A4F26
	v_max3_f32 v150, v40, v41, v150                            // 000000004E98: D1D30096 065A5328
	v_max3_f32 v150, v42, v43, v150                            // 000000004EA0: D1D30096 065A572A
	v_mov_b32_e32 v151, v44                                    // 000000004EA8: 7F2E032C
	v_max3_f32 v151, v44, v45, v151                            // 000000004EAC: D1D30097 065E5B2C
	v_max3_f32 v151, v46, v47, v151                            // 000000004EB4: D1D30097 065E5F2E
	v_max3_f32 v151, v48, v49, v151                            // 000000004EBC: D1D30097 065E6330
	v_max3_f32 v151, v50, v51, v151                            // 000000004EC4: D1D30097 065E6732
	v_max3_f32 v151, v52, v53, v151                            // 000000004ECC: D1D30097 065E6B34
	v_max3_f32 v151, v54, v55, v151                            // 000000004ED4: D1D30097 065E6F36
	v_max3_f32 v151, v56, v57, v151                            // 000000004EDC: D1D30097 065E7338
	v_max3_f32 v151, v58, v59, v151                            // 000000004EE4: D1D30097 065E773A
	ds_write_b64 v220, v[150:151]                              // 000000004EEC: D89A0000 000096DC
	v_pk_mul_f32 v[108:109], v[142:143], v[108:109]            // 000000004EF4: D3B1406C 1802D98E
	v_pk_mul_f32 v[110:111], v[142:143], v[110:111]            // 000000004EFC: D3B1406E 1802DD8E
	v_pk_mul_f32 v[112:113], v[142:143], v[112:113]            // 000000004F04: D3B14070 1802E18E
	v_pk_mul_f32 v[114:115], v[142:143], v[114:115]            // 000000004F0C: D3B14072 1802E58E
	v_pk_mul_f32 v[116:117], v[144:145], v[116:117]            // 000000004F14: D3B14074 1802E990
	v_pk_mul_f32 v[118:119], v[144:145], v[118:119]            // 000000004F1C: D3B14076 1802ED90
	v_pk_mul_f32 v[120:121], v[144:145], v[120:121]            // 000000004F24: D3B14078 1802F190
	v_pk_mul_f32 v[122:123], v[144:145], v[122:123]            // 000000004F2C: D3B1407A 1802F590
	s_waitcnt lgkmcnt(0)                                       // 000000004F34: BF8CC07F
	s_barrier                                                  // 000000004F38: BF8A0000
	ds_read_b64 v[154:155], v221                               // 000000004F3C: D8EC0000 9A0000DD
	ds_read_b64 v[156:157], v221 offset:128                    // 000000004F44: D8EC0080 9C0000DD
	ds_read_b64 v[158:159], v221 offset:256                    // 000000004F4C: D8EC0100 9E0000DD
	ds_read_b64 v[160:161], v221 offset:384                    // 000000004F54: D8EC0180 A00000DD
	ds_read_b64 v[162:163], v221 offset:512                    // 000000004F5C: D8EC0200 A20000DD
	ds_read_b64 v[164:165], v221 offset:640                    // 000000004F64: D8EC0280 A40000DD
	ds_read_b64 v[166:167], v221 offset:768                    // 000000004F6C: D8EC0300 A60000DD
	ds_read_b64 v[168:169], v221 offset:896                    // 000000004F74: D8EC0380 A80000DD
	ds_read_b64 v[170:171], v221 offset:1024                   // 000000004F7C: D8EC0400 AA0000DD
	ds_read_b64 v[172:173], v221 offset:1152                   // 000000004F84: D8EC0480 AC0000DD
	ds_read_b64 v[174:175], v221 offset:1280                   // 000000004F8C: D8EC0500 AE0000DD
	ds_read_b64 v[176:177], v221 offset:1408                   // 000000004F94: D8EC0580 B00000DD
	ds_read_b64 v[178:179], v221 offset:1536                   // 000000004F9C: D8EC0600 B20000DD
	ds_read_b64 v[180:181], v221 offset:1664                   // 000000004FA4: D8EC0680 B40000DD
	ds_read_b64 v[182:183], v221 offset:1792                   // 000000004FAC: D8EC0700 B60000DD
	ds_read_b64 v[184:185], v221 offset:1920                   // 000000004FB4: D8EC0780 B80000DD
	v_pk_mul_f32 v[92:93], v[132:133], v[92:93]                // 000000004FBC: D3B1405C 1802B984
	v_pk_mul_f32 v[94:95], v[132:133], v[94:95]                // 000000004FC4: D3B1405E 1802BD84
	v_pk_mul_f32 v[96:97], v[132:133], v[96:97]                // 000000004FCC: D3B14060 1802C184
	v_pk_mul_f32 v[98:99], v[132:133], v[98:99]                // 000000004FD4: D3B14062 1802C584
	v_pk_mul_f32 v[100:101], v[134:135], v[100:101]            // 000000004FDC: D3B14064 1802C986
	v_pk_mul_f32 v[102:103], v[134:135], v[102:103]            // 000000004FE4: D3B14066 1802CD86
	v_pk_mul_f32 v[104:105], v[134:135], v[104:105]            // 000000004FEC: D3B14068 1802D186
	v_pk_mul_f32 v[106:107], v[134:135], v[106:107]            // 000000004FF4: D3B1406A 1802D586
	s_waitcnt lgkmcnt(0)                                       // 000000004FFC: BF8CC07F
	v_max3_f32 v150, v154, v156, v150                          // 000000005000: D1D30096 065B399A
	v_max3_f32 v151, v155, v157, v151                          // 000000005008: D1D30097 065F3B9B
	v_max3_f32 v150, v158, v160, v150                          // 000000005010: D1D30096 065B419E
	v_max3_f32 v151, v159, v161, v151                          // 000000005018: D1D30097 065F439F
	v_max3_f32 v150, v162, v164, v150                          // 000000005020: D1D30096 065B49A2
	v_max3_f32 v151, v163, v165, v151                          // 000000005028: D1D30097 065F4BA3
	v_max3_f32 v150, v166, v168, v150                          // 000000005030: D1D30096 065B51A6
	v_max3_f32 v151, v167, v169, v151                          // 000000005038: D1D30097 065F53A7
	v_max3_f32 v150, v170, v172, v150                          // 000000005040: D1D30096 065B59AA
	v_max3_f32 v151, v171, v173, v151                          // 000000005048: D1D30097 065F5BAB
	v_max3_f32 v150, v174, v176, v150                          // 000000005050: D1D30096 065B61AE
	v_max3_f32 v151, v175, v177, v151                          // 000000005058: D1D30097 065F63AF
	v_max3_f32 v150, v178, v180, v150                          // 000000005060: D1D30096 065B69B2
	v_max3_f32 v151, v179, v181, v151                          // 000000005068: D1D30097 065F6BB3
	v_max3_f32 v150, v182, v184, v150                          // 000000005070: D1D30096 065B71B6
	v_max3_f32 v151, v183, v185, v151                          // 000000005078: D1D30097 065F73B7
	v_max_f32_e32 v140, v150, v138                             // 000000005080: 17191596
	v_mul_f32_e64 v186, -s46, v140                             // 000000005084: D10500BA 2003182E
	v_mov_b32_e32 v187, v186                                   // 00000000508C: 7F7603BA
	v_pk_fma_f32 v[28:29], v[28:29], s[46:47], v[186:187]      // 000000005090: D3B0401C 1EE85D1C
	v_pk_fma_f32 v[30:31], v[30:31], s[46:47], v[186:187]      // 000000005098: D3B0401E 1EE85D1E
	v_exp_f32_e32 v28, v28                                     // 0000000050A0: 7E38411C
	v_exp_f32_e32 v29, v29                                     // 0000000050A4: 7E3A411D
	v_exp_f32_e32 v30, v30                                     // 0000000050A8: 7E3C411E
	v_exp_f32_e32 v31, v31                                     // 0000000050AC: 7E3E411F
	v_pk_fma_f32 v[32:33], v[32:33], s[46:47], v[186:187]      // 0000000050B0: D3B04020 1EE85D20
	v_pk_fma_f32 v[34:35], v[34:35], s[46:47], v[186:187]      // 0000000050B8: D3B04022 1EE85D22
	v_exp_f32_e32 v32, v32                                     // 0000000050C0: 7E404120
	v_exp_f32_e32 v33, v33                                     // 0000000050C4: 7E424121
	v_exp_f32_e32 v34, v34                                     // 0000000050C8: 7E444122
	v_exp_f32_e32 v35, v35                                     // 0000000050CC: 7E464123
	v_pk_fma_f32 v[36:37], v[36:37], s[46:47], v[186:187]      // 0000000050D0: D3B04024 1EE85D24
	v_pk_fma_f32 v[38:39], v[38:39], s[46:47], v[186:187]      // 0000000050D8: D3B04026 1EE85D26
	v_exp_f32_e32 v36, v36                                     // 0000000050E0: 7E484124
	v_exp_f32_e32 v37, v37                                     // 0000000050E4: 7E4A4125
	v_exp_f32_e32 v38, v38                                     // 0000000050E8: 7E4C4126
	v_exp_f32_e32 v39, v39                                     // 0000000050EC: 7E4E4127
	v_pk_fma_f32 v[40:41], v[40:41], s[46:47], v[186:187]      // 0000000050F0: D3B04028 1EE85D28
	v_pk_fma_f32 v[42:43], v[42:43], s[46:47], v[186:187]      // 0000000050F8: D3B0402A 1EE85D2A
	v_exp_f32_e32 v40, v40                                     // 000000005100: 7E504128
	v_exp_f32_e32 v41, v41                                     // 000000005104: 7E524129
	v_exp_f32_e32 v42, v42                                     // 000000005108: 7E54412A
	v_exp_f32_e32 v43, v43                                     // 00000000510C: 7E56412B
	v_max_f32_e32 v141, v151, v139                             // 000000005110: 171B1797
	v_mul_f32_e64 v186, -s46, v141                             // 000000005114: D10500BA 20031A2E
	v_mov_b32_e32 v187, v186                                   // 00000000511C: 7F7603BA
	v_pk_fma_f32 v[44:45], v[44:45], s[46:47], v[186:187]      // 000000005120: D3B0402C 1EE85D2C
	v_pk_fma_f32 v[46:47], v[46:47], s[46:47], v[186:187]      // 000000005128: D3B0402E 1EE85D2E
	v_exp_f32_e32 v44, v44                                     // 000000005130: 7E58412C
	v_exp_f32_e32 v45, v45                                     // 000000005134: 7E5A412D
	v_exp_f32_e32 v46, v46                                     // 000000005138: 7E5C412E
	v_exp_f32_e32 v47, v47                                     // 00000000513C: 7E5E412F
	v_pk_fma_f32 v[48:49], v[48:49], s[46:47], v[186:187]      // 000000005140: D3B04030 1EE85D30
	v_pk_fma_f32 v[50:51], v[50:51], s[46:47], v[186:187]      // 000000005148: D3B04032 1EE85D32
	v_exp_f32_e32 v48, v48                                     // 000000005150: 7E604130
	v_exp_f32_e32 v49, v49                                     // 000000005154: 7E624131
	v_exp_f32_e32 v50, v50                                     // 000000005158: 7E644132
	v_exp_f32_e32 v51, v51                                     // 00000000515C: 7E664133
	v_pk_fma_f32 v[52:53], v[52:53], s[46:47], v[186:187]      // 000000005160: D3B04034 1EE85D34
	v_pk_fma_f32 v[54:55], v[54:55], s[46:47], v[186:187]      // 000000005168: D3B04036 1EE85D36
	v_exp_f32_e32 v52, v52                                     // 000000005170: 7E684134
	v_exp_f32_e32 v53, v53                                     // 000000005174: 7E6A4135
	v_exp_f32_e32 v54, v54                                     // 000000005178: 7E6C4136
	v_exp_f32_e32 v55, v55                                     // 00000000517C: 7E6E4137
	v_pk_fma_f32 v[56:57], v[56:57], s[46:47], v[186:187]      // 000000005180: D3B04038 1EE85D38
	v_pk_fma_f32 v[58:59], v[58:59], s[46:47], v[186:187]      // 000000005188: D3B0403A 1EE85D3A
	v_exp_f32_e32 v56, v56                                     // 000000005190: 7E704138
	v_exp_f32_e32 v57, v57                                     // 000000005194: 7E724139
	v_exp_f32_e32 v58, v58                                     // 000000005198: 7E74413A
	v_exp_f32_e32 v59, v59                                     // 00000000519C: 7E76413B
	v_mul_f32_dpp v60, v130, v28 row_newbcast:0 row_mask:0xf bank_mask:0xf// 0000000051A0: 0A7838FA FF015082
	v_mul_f32_dpp v61, v130, v29 row_newbcast:1 row_mask:0xf bank_mask:0xf// 0000000051A8: 0A7A3AFA FF015182
	v_mul_f32_dpp v62, v130, v30 row_newbcast:2 row_mask:0xf bank_mask:0xf// 0000000051B0: 0A7C3CFA FF015282
	v_mul_f32_dpp v63, v130, v31 row_newbcast:3 row_mask:0xf bank_mask:0xf// 0000000051B8: 0A7E3EFA FF015382
	v_mul_f32_dpp v64, v130, v32 row_newbcast:4 row_mask:0xf bank_mask:0xf// 0000000051C0: 0A8040FA FF015482
	v_mul_f32_dpp v65, v130, v33 row_newbcast:5 row_mask:0xf bank_mask:0xf// 0000000051C8: 0A8242FA FF015582
	v_mul_f32_dpp v66, v130, v34 row_newbcast:6 row_mask:0xf bank_mask:0xf// 0000000051D0: 0A8444FA FF015682
	v_mul_f32_dpp v67, v130, v35 row_newbcast:7 row_mask:0xf bank_mask:0xf// 0000000051D8: 0A8646FA FF015782
	v_mul_f32_dpp v68, v130, v36 row_newbcast:8 row_mask:0xf bank_mask:0xf// 0000000051E0: 0A8848FA FF015882
	v_mul_f32_dpp v69, v130, v37 row_newbcast:9 row_mask:0xf bank_mask:0xf// 0000000051E8: 0A8A4AFA FF015982
	v_mul_f32_dpp v70, v130, v38 row_newbcast:10 row_mask:0xf bank_mask:0xf// 0000000051F0: 0A8C4CFA FF015A82
	v_mul_f32_dpp v71, v130, v39 row_newbcast:11 row_mask:0xf bank_mask:0xf// 0000000051F8: 0A8E4EFA FF015B82
	v_mul_f32_dpp v72, v130, v40 row_newbcast:12 row_mask:0xf bank_mask:0xf// 000000005200: 0A9050FA FF015C82
	v_mul_f32_dpp v73, v130, v41 row_newbcast:13 row_mask:0xf bank_mask:0xf// 000000005208: 0A9252FA FF015D82
	v_mul_f32_dpp v74, v130, v42 row_newbcast:14 row_mask:0xf bank_mask:0xf// 000000005210: 0A9454FA FF015E82
	v_mul_f32_dpp v75, v130, v43 row_newbcast:15 row_mask:0xf bank_mask:0xf// 000000005218: 0A9656FA FF015F82
	v_mul_f32_dpp v76, v130, v44 row_newbcast:0 row_mask:0xf bank_mask:0xf// 000000005220: 0A9858FA FF015082
	v_mul_f32_dpp v77, v130, v45 row_newbcast:1 row_mask:0xf bank_mask:0xf// 000000005228: 0A9A5AFA FF015182
	v_mul_f32_dpp v78, v130, v46 row_newbcast:2 row_mask:0xf bank_mask:0xf// 000000005230: 0A9C5CFA FF015282
	v_mul_f32_dpp v79, v130, v47 row_newbcast:3 row_mask:0xf bank_mask:0xf// 000000005238: 0A9E5EFA FF015382
	v_mul_f32_dpp v80, v130, v48 row_newbcast:4 row_mask:0xf bank_mask:0xf// 000000005240: 0AA060FA FF015482
	v_mul_f32_dpp v81, v130, v49 row_newbcast:5 row_mask:0xf bank_mask:0xf// 000000005248: 0AA262FA FF015582
	v_mul_f32_dpp v82, v130, v50 row_newbcast:6 row_mask:0xf bank_mask:0xf// 000000005250: 0AA464FA FF015682
	v_mul_f32_dpp v83, v130, v51 row_newbcast:7 row_mask:0xf bank_mask:0xf// 000000005258: 0AA666FA FF015782
	v_mul_f32_dpp v84, v130, v52 row_newbcast:8 row_mask:0xf bank_mask:0xf// 000000005260: 0AA868FA FF015882
	v_mul_f32_dpp v85, v130, v53 row_newbcast:9 row_mask:0xf bank_mask:0xf// 000000005268: 0AAA6AFA FF015982
	v_mul_f32_dpp v86, v130, v54 row_newbcast:10 row_mask:0xf bank_mask:0xf// 000000005270: 0AAC6CFA FF015A82
	v_mul_f32_dpp v87, v130, v55 row_newbcast:11 row_mask:0xf bank_mask:0xf// 000000005278: 0AAE6EFA FF015B82
	v_mul_f32_dpp v88, v130, v56 row_newbcast:12 row_mask:0xf bank_mask:0xf// 000000005280: 0AB070FA FF015C82
	v_mul_f32_dpp v89, v130, v57 row_newbcast:13 row_mask:0xf bank_mask:0xf// 000000005288: 0AB272FA FF015D82
	v_mul_f32_dpp v90, v130, v58 row_newbcast:14 row_mask:0xf bank_mask:0xf// 000000005290: 0AB474FA FF015E82
	v_mul_f32_dpp v91, v130, v59 row_newbcast:15 row_mask:0xf bank_mask:0xf// 000000005298: 0AB676FA FF015F82
	buffer_load_dword v129, v208, s[20:23], 0 offen            // 0000000052A0: E0501000 800581D0
	v_sub_f32_e32 v142, v138, v140                             // 0000000052A8: 051D198A
	v_cmp_eq_u32_e64 s[98:99], v197, v138                      // 0000000052AC: D0CA0062 000315C5
	v_cndmask_b32_e64 v142, v142, 0, s[98:99]                  // 0000000052B4: D100008E 0189018E
	v_mov_b32_e32 v138, v140                                   // 0000000052BC: 7F14038C
	v_mul_f32_e32 v142, s46, v142                              // 0000000052C0: 0B1D1C2E
	v_exp_f32_e32 v142, v142                                   // 0000000052C4: 7F1C418E
	v_sub_f32_e32 v144, v139, v141                             // 0000000052C8: 05211B8B
	v_cmp_eq_u32_e64 s[98:99], v197, v139                      // 0000000052CC: D0CA0062 000317C5
	v_cndmask_b32_e64 v144, v144, 0, s[98:99]                  // 0000000052D4: D1000090 01890190
	v_mov_b32_e32 v139, v141                                   // 0000000052DC: 7F16038D
	v_mul_f32_e32 v144, s46, v144                              // 0000000052E0: 0B21202E
	v_exp_f32_e32 v144, v144                                   // 0000000052E4: 7F204190
	v_mov_b32_e32 v143, v142                                   // 0000000052E8: 7F1E038E
	v_mov_b32_e32 v145, v144                                   // 0000000052EC: 7F220390
	buffer_load_dword v131, v209, s[24:27], 0 offen            // 0000000052F0: E0501000 800683D1
	s_waitcnt lgkmcnt(0)                                       // 0000000052F8: BF8CC07F
	s_barrier                                                  // 0000000052FC: BF8A0000
	v_mul_f32_e32 v146, v142, v146                             // 000000005300: 0B25258E
	v_mov_b32_e32 v147, 0                                      // 000000005304: 7F260280
	v_pk_add_f32 v[146:147], v[28:29], v[146:147]              // 000000005308: D3B24092 1803251C
	v_pk_add_f32 v[146:147], v[30:31], v[146:147]              // 000000005310: D3B24092 1803251E
	v_pk_add_f32 v[146:147], v[32:33], v[146:147]              // 000000005318: D3B24092 18032520
	v_pk_add_f32 v[146:147], v[34:35], v[146:147]              // 000000005320: D3B24092 18032522
	;; [unrolled: 1-line block ×5, first 2 shown]
	v_pk_add_f32 v[146:147], v[42:43], v[146:147]              // 000000005340: D3B24092 1803252A
	v_add_f32_e32 v146, v147, v146                             // 000000005348: 03252593
	v_mul_f32_e32 v148, v144, v148                             // 00000000534C: 0B292990
	v_mov_b32_e32 v149, 0                                      // 000000005350: 7F2A0280
	v_pk_add_f32 v[148:149], v[44:45], v[148:149]              // 000000005354: D3B24094 1803292C
	v_pk_add_f32 v[148:149], v[46:47], v[148:149]              // 00000000535C: D3B24094 1803292E
	v_pk_add_f32 v[148:149], v[48:49], v[148:149]              // 000000005364: D3B24094 18032930
	v_pk_add_f32 v[148:149], v[50:51], v[148:149]              // 00000000536C: D3B24094 18032932
	v_pk_add_f32 v[148:149], v[52:53], v[148:149]              // 000000005374: D3B24094 18032934
	v_pk_add_f32 v[148:149], v[54:55], v[148:149]              // 00000000537C: D3B24094 18032936
	v_pk_add_f32 v[148:149], v[56:57], v[148:149]              // 000000005384: D3B24094 18032938
	v_pk_add_f32 v[148:149], v[58:59], v[148:149]              // 00000000538C: D3B24094 1803293A
	v_add_f32_e32 v148, v149, v148                             // 000000005394: 03292995
	s_waitcnt lgkmcnt(0)                                       // 000000005398: BF8CC07F
	v_sub_f32_e32 v150, v150, v138                             // 00000000539C: 052D1596
	v_sub_f32_e32 v151, v151, v139                             // 0000000053A0: 052F1797
	v_mul_f32_e32 v150, s46, v150                              // 0000000053A4: 0B2D2C2E
	v_mul_f32_e32 v151, s46, v151                              // 0000000053A8: 0B2F2E2E
	v_exp_f32_e32 v150, v150                                   // 0000000053AC: 7F2C4196
	v_exp_f32_e32 v151, v151                                   // 0000000053B0: 7F2E4197
	v_mul_f32_e32 v150, v130, v150                             // 0000000053B4: 0B2D2D82
	v_mul_f32_e32 v151, v130, v151                             // 0000000053B8: 0B2F2F82
	v_add_f32_e32 v150, 0x3089705f, v150                       // 0000000053BC: 032D2CFF 3089705F
	v_add_f32_e32 v151, 0x3089705f, v151                       // 0000000053C4: 032F2EFF 3089705F
	v_rcp_f32_e32 v150, v150                                   // 0000000053CC: 7F2C4596
	v_rcp_f32_e32 v151, v151                                   // 0000000053D0: 7F2E4597
	v_mul_f32_e32 v150, 0x43700000, v150                       // 0000000053D4: 0B2D2CFF 43700000
	v_mul_f32_e32 v151, 0x43700000, v151                       // 0000000053DC: 0B2F2EFF 43700000
	v_mov_b32_e32 v152, v151                                   // 0000000053E4: 7F300397
	v_mov_b32_e32 v153, v151                                   // 0000000053E8: 7F320397
	v_mov_b32_e32 v151, v150                                   // 0000000053EC: 7F2E0396
	v_pk_mul_f32 v[28:29], v[150:151], v[60:61]                // 0000000053F0: D3B1401C 18027996
	v_pk_mul_f32 v[30:31], v[150:151], v[62:63]                // 0000000053F8: D3B1401E 18027D96
	v_pk_mul_f32 v[32:33], v[150:151], v[64:65]                // 000000005400: D3B14020 18028196
	v_pk_mul_f32 v[34:35], v[150:151], v[66:67]                // 000000005408: D3B14022 18028596
	v_pk_mul_f32 v[36:37], v[150:151], v[68:69]                // 000000005410: D3B14024 18028996
	v_pk_mul_f32 v[38:39], v[150:151], v[70:71]                // 000000005418: D3B14026 18028D96
	v_pk_mul_f32 v[40:41], v[150:151], v[72:73]                // 000000005420: D3B14028 18029196
	v_pk_mul_f32 v[42:43], v[150:151], v[74:75]                // 000000005428: D3B1402A 18029596
	v_pk_mul_f32 v[44:45], v[152:153], v[76:77]                // 000000005430: D3B1402C 18029998
	v_pk_mul_f32 v[46:47], v[152:153], v[78:79]                // 000000005438: D3B1402E 18029D98
	v_pk_mul_f32 v[48:49], v[152:153], v[80:81]                // 000000005440: D3B14030 1802A198
	v_pk_mul_f32 v[50:51], v[152:153], v[82:83]                // 000000005448: D3B14032 1802A598
	v_pk_mul_f32 v[52:53], v[152:153], v[84:85]                // 000000005450: D3B14034 1802A998
	v_pk_mul_f32 v[54:55], v[152:153], v[86:87]                // 000000005458: D3B14036 1802AD98
	v_pk_mul_f32 v[56:57], v[152:153], v[88:89]                // 000000005460: D3B14038 1802B198
	v_pk_mul_f32 v[58:59], v[152:153], v[90:91]                // 000000005468: D3B1403A 1802B598
	v_cvt_pk_fp8_f32 v28, v28, v29                             // 000000005470: D2A2001C 00023B1C
	v_cvt_pk_fp8_f32 v28, v30, v31 op_sel:[0,0,1]              // 000000005478: D2A2401C 00023F1E
	v_cvt_pk_fp8_f32 v29, v32, v33                             // 000000005480: D2A2001D 00024320
	v_cvt_pk_fp8_f32 v29, v34, v35 op_sel:[0,0,1]              // 000000005488: D2A2401D 00024722
	v_cvt_pk_fp8_f32 v30, v36, v37                             // 000000005490: D2A2001E 00024B24
	v_cvt_pk_fp8_f32 v30, v38, v39 op_sel:[0,0,1]              // 000000005498: D2A2401E 00024F26
	v_cvt_pk_fp8_f32 v31, v40, v41                             // 0000000054A0: D2A2001F 00025328
	v_cvt_pk_fp8_f32 v31, v42, v43 op_sel:[0,0,1]              // 0000000054A8: D2A2401F 0002572A
	v_cvt_pk_fp8_f32 v32, v44, v45                             // 0000000054B0: D2A20020 00025B2C
	v_cvt_pk_fp8_f32 v32, v46, v47 op_sel:[0,0,1]              // 0000000054B8: D2A24020 00025F2E
	v_cvt_pk_fp8_f32 v33, v48, v49                             // 0000000054C0: D2A20021 00026330
	v_cvt_pk_fp8_f32 v33, v50, v51 op_sel:[0,0,1]              // 0000000054C8: D2A24021 00026732
	v_cvt_pk_fp8_f32 v34, v52, v53                             // 0000000054D0: D2A20022 00026B34
	v_cvt_pk_fp8_f32 v34, v54, v55 op_sel:[0,0,1]              // 0000000054D8: D2A24022 00026F36
	v_cvt_pk_fp8_f32 v35, v56, v57                             // 0000000054E0: D2A20023 00027338
	v_cvt_pk_fp8_f32 v35, v58, v59 op_sel:[0,0,1]              // 0000000054E8: D2A24023 0002773A
	ds_write_b32 v222, v28 offset:4608                         // 0000000054F0: D81A1200 00001CDE
	ds_write_b32 v222, v29 offset:5632                         // 0000000054F8: D81A1600 00001DDE
	ds_write_b32 v222, v30 offset:6656                         // 000000005500: D81A1A00 00001EDE
	ds_write_b32 v222, v31 offset:7680                         // 000000005508: D81A1E00 00001FDE
	ds_write_b32 v222, v32 offset:8704                         // 000000005510: D81A2200 000020DE
	ds_write_b32 v222, v33 offset:9728                         // 000000005518: D81A2600 000021DE
	ds_write_b32 v222, v34 offset:10752                        // 000000005520: D81A2A00 000022DE
	ds_write_b32 v222, v35 offset:11776                        // 000000005528: D81A2E00 000023DE
	v_rcp_f32_e32 v132, v150                                   // 000000005530: 7F084596
	v_rcp_f32_e32 v134, v152                                   // 000000005534: 7F0C4598
	v_mov_b32_e32 v133, v132                                   // 000000005538: 7F0A0384
	v_mov_b32_e32 v135, v134                                   // 00000000553C: 7F0E0386
	v_pk_add_f32 v[108:109], v[108:109], v[92:93]              // 000000005540: D3B2406C 1802B96C
	v_pk_add_f32 v[110:111], v[110:111], v[94:95]              // 000000005548: D3B2406E 1802BD6E
	v_pk_add_f32 v[112:113], v[112:113], v[96:97]              // 000000005550: D3B24070 1802C170
	v_pk_add_f32 v[114:115], v[114:115], v[98:99]              // 000000005558: D3B24072 1802C572
	v_pk_add_f32 v[116:117], v[116:117], v[100:101]            // 000000005560: D3B24074 1802C974
	v_pk_add_f32 v[118:119], v[118:119], v[102:103]            // 000000005568: D3B24076 1802CD76
	v_pk_add_f32 v[120:121], v[120:121], v[104:105]            // 000000005570: D3B24078 1802D178
	v_pk_add_f32 v[122:123], v[122:123], v[106:107]            // 000000005578: D3B2407A 1802D57A
	s_waitcnt lgkmcnt(0)                                       // 000000005580: BF8CC07F
	s_barrier                                                  // 000000005584: BF8A0000
	ds_read_b128 v[28:31], v223 offset:4608                    // 000000005588: D9FE1200 1C0000DF
	ds_read_b128 v[32:35], v223 offset:5632                    // 000000005590: D9FE1600 200000DF
	ds_read_b128 v[36:39], v223 offset:6656                    // 000000005598: D9FE1A00 240000DF
	ds_read_b128 v[40:43], v223 offset:7680                    // 0000000055A0: D9FE1E00 280000DF
	ds_read_b128 v[44:47], v223 offset:8704                    // 0000000055A8: D9FE2200 2C0000DF
	ds_read_b128 v[48:51], v223 offset:9728                    // 0000000055B0: D9FE2600 300000DF
	ds_read_b128 v[52:55], v223 offset:10752                   // 0000000055B8: D9FE2A00 340000DF
	ds_read_b128 v[56:59], v223 offset:11776                   // 0000000055C0: D9FE2E00 380000DF
	s_waitcnt vmcnt(10)                                        // 0000000055C8: BF8C0F7A
	s_waitcnt lgkmcnt(7)                                       // 0000000055CC: BF8CC77F
	v_mfma_f32_16x16x32_fp8_fp8 v[92:95], a[64:65], v[28:29], 0// 0000000055D0: D3F3005C 0A023940
	v_mfma_f32_16x16x32_fp8_fp8 v[96:99], a[80:81], v[28:29], 0// 0000000055D8: D3F30060 0A023950
	v_mfma_f32_16x16x32_fp8_fp8 v[92:95], a[66:67], v[30:31], v[92:95]// 0000000055E0: D3F3005C 0D723D42
	buffer_load_dwordx4 a[96:99], v204, s[16:19], 0 offen      // 0000000055E8: E05C1000 808460CC
	v_mfma_f32_16x16x32_fp8_fp8 v[96:99], a[82:83], v[30:31], v[96:99]// 0000000055F0: D3F30060 0D823D52
	s_waitcnt lgkmcnt(6)                                       // 0000000055F8: BF8CC67F
	v_mfma_f32_16x16x32_fp8_fp8 v[92:95], a[68:69], v[32:33], v[92:95]// 0000000055FC: D3F3005C 0D724144
	v_mfma_f32_16x16x32_fp8_fp8 v[96:99], a[84:85], v[32:33], v[96:99]// 000000005604: D3F30060 0D824154
	v_mfma_f32_16x16x32_fp8_fp8 v[92:95], a[70:71], v[34:35], v[92:95]// 00000000560C: D3F3005C 0D724546
	buffer_load_dwordx4 a[100:103], v205, s[16:19], 0 offen    // 000000005614: E05C1000 808464CD
	v_mfma_f32_16x16x32_fp8_fp8 v[96:99], a[86:87], v[34:35], v[96:99]// 00000000561C: D3F30060 0D824556
	s_waitcnt lgkmcnt(5)                                       // 000000005624: BF8CC57F
	v_mfma_f32_16x16x32_fp8_fp8 v[92:95], a[72:73], v[36:37], v[92:95]// 000000005628: D3F3005C 0D724948
	v_mfma_f32_16x16x32_fp8_fp8 v[96:99], a[88:89], v[36:37], v[96:99]// 000000005630: D3F30060 0D824958
	v_mfma_f32_16x16x32_fp8_fp8 v[92:95], a[74:75], v[38:39], v[92:95]// 000000005638: D3F3005C 0D724D4A
	buffer_load_dwordx4 a[104:107], v206, s[16:19], 0 offen    // 000000005640: E05C1000 808468CE
	v_mfma_f32_16x16x32_fp8_fp8 v[96:99], a[90:91], v[38:39], v[96:99]// 000000005648: D3F30060 0D824D5A
	s_waitcnt lgkmcnt(4)                                       // 000000005650: BF8CC47F
	v_mfma_f32_16x16x32_fp8_fp8 v[92:95], a[76:77], v[40:41], v[92:95]// 000000005654: D3F3005C 0D72514C
	v_mfma_f32_16x16x32_fp8_fp8 v[96:99], a[92:93], v[40:41], v[96:99]// 00000000565C: D3F30060 0D82515C
	v_mfma_f32_16x16x32_fp8_fp8 v[92:95], a[78:79], v[42:43], v[92:95]// 000000005664: D3F3005C 0D72554E
	buffer_load_dwordx4 a[108:111], v207, s[16:19], 0 offen    // 00000000566C: E05C1000 80846CCF
	v_mfma_f32_16x16x32_fp8_fp8 v[96:99], a[94:95], v[42:43], v[96:99]// 000000005674: D3F30060 0D82555E
	s_waitcnt lgkmcnt(3)                                       // 00000000567C: BF8CC37F
	v_mfma_f32_16x16x32_fp8_fp8 v[100:103], a[64:65], v[44:45], 0// 000000005680: D3F30064 0A025940
	v_mfma_f32_16x16x32_fp8_fp8 v[104:107], a[80:81], v[44:45], 0// 000000005688: D3F30068 0A025950
	v_mfma_f32_16x16x32_fp8_fp8 v[100:103], a[66:67], v[46:47], v[100:103]// 000000005690: D3F30064 0D925D42
	buffer_load_dwordx4 a[112:115], v204, s[16:19], 0 offen offset:1024// 000000005698: E05C1400 808470CC
	v_mfma_f32_16x16x32_fp8_fp8 v[104:107], a[82:83], v[46:47], v[104:107]// 0000000056A0: D3F30068 0DA25D52
	s_waitcnt lgkmcnt(2)                                       // 0000000056A8: BF8CC27F
	v_mfma_f32_16x16x32_fp8_fp8 v[100:103], a[68:69], v[48:49], v[100:103]// 0000000056AC: D3F30064 0D926144
	v_mfma_f32_16x16x32_fp8_fp8 v[104:107], a[84:85], v[48:49], v[104:107]// 0000000056B4: D3F30068 0DA26154
	v_mfma_f32_16x16x32_fp8_fp8 v[100:103], a[70:71], v[50:51], v[100:103]// 0000000056BC: D3F30064 0D926546
	buffer_load_dwordx4 a[116:119], v205, s[16:19], 0 offen offset:1024// 0000000056C4: E05C1400 808474CD
	v_mfma_f32_16x16x32_fp8_fp8 v[104:107], a[86:87], v[50:51], v[104:107]// 0000000056CC: D3F30068 0DA26556
	s_waitcnt lgkmcnt(1)                                       // 0000000056D4: BF8CC17F
	v_mfma_f32_16x16x32_fp8_fp8 v[100:103], a[72:73], v[52:53], v[100:103]// 0000000056D8: D3F30064 0D926948
	v_mfma_f32_16x16x32_fp8_fp8 v[104:107], a[88:89], v[52:53], v[104:107]// 0000000056E0: D3F30068 0DA26958
	v_mfma_f32_16x16x32_fp8_fp8 v[100:103], a[74:75], v[54:55], v[100:103]// 0000000056E8: D3F30064 0D926D4A
	buffer_load_dwordx4 a[120:123], v206, s[16:19], 0 offen offset:1024// 0000000056F0: E05C1400 808478CE
	v_mfma_f32_16x16x32_fp8_fp8 v[104:107], a[90:91], v[54:55], v[104:107]// 0000000056F8: D3F30068 0DA26D5A
	s_waitcnt lgkmcnt(0)                                       // 000000005700: BF8CC07F
	v_mfma_f32_16x16x32_fp8_fp8 v[100:103], a[76:77], v[56:57], v[100:103]// 000000005704: D3F30064 0D92714C
	v_mfma_f32_16x16x32_fp8_fp8 v[104:107], a[92:93], v[56:57], v[104:107]// 00000000570C: D3F30068 0DA2715C
	v_mfma_f32_16x16x32_fp8_fp8 v[100:103], a[78:79], v[58:59], v[100:103]// 000000005714: D3F30064 0D92754E
	buffer_load_dwordx4 a[124:127], v207, s[16:19], 0 offen offset:1024// 00000000571C: E05C1400 80847CCF
	v_mfma_f32_16x16x32_fp8_fp8 v[104:107], a[94:95], v[58:59], v[104:107]// 000000005724: D3F30068 0DA2755E
	s_addk_i32 s64, 0x100                                      // 00000000572C: B7400100
	s_cmp_lt_i32 s64, s63                                      // 000000005730: BF043F40
	s_cbranch_scc0 label_2BB4                                  // 000000005734: BF841F66
	s_waitcnt vmcnt(10)                                        // 000000005738: BF8C0F7A
	v_mfma_f32_16x16x32_fp8_fp8 v[28:31], a[32:33], v[12:13], 0// 00000000573C: D3F3001C 0A021920
	s_add_u32 s12, s86, s69                                    // 000000005744: 800C4556
	s_addc_u32 s13, s87, 0                                     // 000000005748: 820D8057
	v_mfma_f32_16x16x32_fp8_fp8 v[28:31], a[34:35], v[14:15], v[28:31]// 00000000574C: D3F3001C 0C721D22
	s_add_u32 s16, s88, s70                                    // 000000005754: 80104658
	s_addc_u32 s17, s89, 0                                     // 000000005758: 82118059
	v_mfma_f32_16x16x32_fp8_fp8 v[28:31], a[36:37], v[16:17], v[28:31]// 00000000575C: D3F3001C 0C722124
	buffer_load_dwordx4 a[0:3], v202, s[12:15], 0 offen        // 000000005764: E05C1000 808300CA
	v_mfma_f32_16x16x32_fp8_fp8 v[28:31], a[38:39], v[18:19], v[28:31]// 00000000576C: D3F3001C 0C722526
	s_add_u32 s20, s90, s71                                    // 000000005774: 8014475A
	s_addc_u32 s21, s91, 0                                     // 000000005778: 8215805B
	v_mfma_f32_16x16x32_fp8_fp8 v[32:35], a[40:41], v[12:13], 0// 00000000577C: D3F30020 0A021928
	s_add_u32 s24, s92, s71                                    // 000000005784: 8018475C
	s_addc_u32 s25, s93, 0                                     // 000000005788: 8219805D
	v_mfma_f32_16x16x32_fp8_fp8 v[32:35], a[42:43], v[14:15], v[32:35]// 00000000578C: D3F30020 0C821D2A
	s_add_u32 s69, s69, 0x1000                                 // 000000005794: 8045FF45 00001000
	s_add_u32 s70, s70, 0x8000                                 // 00000000579C: 8046FF46 00008000
	v_mfma_f32_16x16x32_fp8_fp8 v[32:35], a[44:45], v[16:17], v[32:35]// 0000000057A4: D3F30020 0C82212C
	buffer_load_dwordx4 a[4:7], v203, s[12:15], 0 offen        // 0000000057AC: E05C1000 808304CB
	v_mfma_f32_16x16x32_fp8_fp8 v[32:35], a[46:47], v[18:19], v[32:35]// 0000000057B4: D3F30020 0C82252E
	v_mfma_f32_16x16x32_fp8_fp8 v[36:39], a[48:49], v[12:13], 0// 0000000057BC: D3F30024 0A021930
	v_mfma_f32_16x16x32_fp8_fp8 v[36:39], a[50:51], v[14:15], v[36:39]// 0000000057C4: D3F30024 0C921D32
	v_mfma_f32_16x16x32_fp8_fp8 v[36:39], a[52:53], v[16:17], v[36:39]// 0000000057CC: D3F30024 0C922134
	buffer_load_dwordx4 a[8:11], v202, s[12:15], 0 offen offset:1024// 0000000057D4: E05C1400 808308CA
	v_mfma_f32_16x16x32_fp8_fp8 v[36:39], a[54:55], v[18:19], v[36:39]// 0000000057DC: D3F30024 0C922536
	v_mfma_f32_16x16x32_fp8_fp8 v[40:43], a[56:57], v[12:13], 0// 0000000057E4: D3F30028 0A021938
	v_mfma_f32_16x16x32_fp8_fp8 v[40:43], a[58:59], v[14:15], v[40:43]// 0000000057EC: D3F30028 0CA21D3A
	v_mfma_f32_16x16x32_fp8_fp8 v[40:43], a[60:61], v[16:17], v[40:43]// 0000000057F4: D3F30028 0CA2213C
	buffer_load_dwordx4 a[12:15], v203, s[12:15], 0 offen offset:1024// 0000000057FC: E05C1400 80830CCB
	v_mfma_f32_16x16x32_fp8_fp8 v[40:43], a[62:63], v[18:19], v[40:43]// 000000005804: D3F30028 0CA2253E
	v_mfma_f32_16x16x32_fp8_fp8 v[44:47], a[32:33], v[20:21], 0// 00000000580C: D3F3002C 0A022920
	v_mfma_f32_16x16x32_fp8_fp8 v[44:47], a[34:35], v[22:23], v[44:47]// 000000005814: D3F3002C 0CB22D22
	v_mfma_f32_16x16x32_fp8_fp8 v[44:47], a[36:37], v[24:25], v[44:47]// 00000000581C: D3F3002C 0CB23124
	buffer_load_dwordx4 a[16:19], v202, s[12:15], 0 offen offset:2048// 000000005824: E05C1800 808310CA
	v_mfma_f32_16x16x32_fp8_fp8 v[44:47], a[38:39], v[26:27], v[44:47]// 00000000582C: D3F3002C 0CB23526
	v_mfma_f32_16x16x32_fp8_fp8 v[48:51], a[40:41], v[20:21], 0// 000000005834: D3F30030 0A022928
	v_mfma_f32_16x16x32_fp8_fp8 v[48:51], a[42:43], v[22:23], v[48:51]// 00000000583C: D3F30030 0CC22D2A
	v_mfma_f32_16x16x32_fp8_fp8 v[48:51], a[44:45], v[24:25], v[48:51]// 000000005844: D3F30030 0CC2312C
	buffer_load_dwordx4 a[20:23], v203, s[12:15], 0 offen offset:2048// 00000000584C: E05C1800 808314CB
	v_mfma_f32_16x16x32_fp8_fp8 v[48:51], a[46:47], v[26:27], v[48:51]// 000000005854: D3F30030 0CC2352E
	v_mfma_f32_16x16x32_fp8_fp8 v[52:55], a[48:49], v[20:21], 0// 00000000585C: D3F30034 0A022930
	v_mfma_f32_16x16x32_fp8_fp8 v[52:55], a[50:51], v[22:23], v[52:55]// 000000005864: D3F30034 0CD22D32
	v_mfma_f32_16x16x32_fp8_fp8 v[52:55], a[52:53], v[24:25], v[52:55]// 00000000586C: D3F30034 0CD23134
	buffer_load_dwordx4 a[24:27], v202, s[12:15], 0 offen offset:3072// 000000005874: E05C1C00 808318CA
	v_mfma_f32_16x16x32_fp8_fp8 v[52:55], a[54:55], v[26:27], v[52:55]// 00000000587C: D3F30034 0CD23536
	v_mfma_f32_16x16x32_fp8_fp8 v[56:59], a[56:57], v[20:21], 0// 000000005884: D3F30038 0A022938
	v_mfma_f32_16x16x32_fp8_fp8 v[56:59], a[58:59], v[22:23], v[56:59]// 00000000588C: D3F30038 0CE22D3A
	v_mfma_f32_16x16x32_fp8_fp8 v[56:59], a[60:61], v[24:25], v[56:59]// 000000005894: D3F30038 0CE2313C
	buffer_load_dwordx4 a[28:31], v203, s[12:15], 0 offen offset:3072// 00000000589C: E05C1C00 80831CCB
	v_mfma_f32_16x16x32_fp8_fp8 v[56:59], a[62:63], v[26:27], v[56:59]// 0000000058A4: D3F30038 0CE2353E
	s_waitcnt vmcnt(16)                                        // 0000000058AC: BF8C4F70
	v_pk_mul_f32 v[28:29], v[124:125], v[28:29]                // 0000000058B0: D3B1401C 1802397C
	v_pk_mul_f32 v[30:31], v[124:125], v[30:31]                // 0000000058B8: D3B1401E 18023D7C
	v_mul_f32_dpp v28, v129, v28 row_newbcast:0 row_mask:0xf bank_mask:0xf// 0000000058C0: 0A3838FA FF015081
	v_mul_f32_dpp v29, v129, v29 row_newbcast:1 row_mask:0xf bank_mask:0xf// 0000000058C8: 0A3A3AFA FF015181
	v_mul_f32_dpp v30, v129, v30 row_newbcast:2 row_mask:0xf bank_mask:0xf// 0000000058D0: 0A3C3CFA FF015281
	v_mul_f32_dpp v31, v129, v31 row_newbcast:3 row_mask:0xf bank_mask:0xf// 0000000058D8: 0A3E3EFA FF015381
	v_pk_mul_f32 v[32:33], v[124:125], v[32:33]                // 0000000058E0: D3B14020 1802417C
	v_pk_mul_f32 v[34:35], v[124:125], v[34:35]                // 0000000058E8: D3B14022 1802457C
	v_mul_f32_dpp v32, v129, v32 row_newbcast:4 row_mask:0xf bank_mask:0xf// 0000000058F0: 0A4040FA FF015481
	v_mul_f32_dpp v33, v129, v33 row_newbcast:5 row_mask:0xf bank_mask:0xf// 0000000058F8: 0A4242FA FF015581
	v_mul_f32_dpp v34, v129, v34 row_newbcast:6 row_mask:0xf bank_mask:0xf// 000000005900: 0A4444FA FF015681
	v_mul_f32_dpp v35, v129, v35 row_newbcast:7 row_mask:0xf bank_mask:0xf// 000000005908: 0A4646FA FF015781
	v_pk_mul_f32 v[36:37], v[124:125], v[36:37]                // 000000005910: D3B14024 1802497C
	v_pk_mul_f32 v[38:39], v[124:125], v[38:39]                // 000000005918: D3B14026 18024D7C
	v_mul_f32_dpp v36, v129, v36 row_newbcast:8 row_mask:0xf bank_mask:0xf// 000000005920: 0A4848FA FF015881
	v_mul_f32_dpp v37, v129, v37 row_newbcast:9 row_mask:0xf bank_mask:0xf// 000000005928: 0A4A4AFA FF015981
	v_mul_f32_dpp v38, v129, v38 row_newbcast:10 row_mask:0xf bank_mask:0xf// 000000005930: 0A4C4CFA FF015A81
	v_mul_f32_dpp v39, v129, v39 row_newbcast:11 row_mask:0xf bank_mask:0xf// 000000005938: 0A4E4EFA FF015B81
	v_pk_mul_f32 v[40:41], v[124:125], v[40:41]                // 000000005940: D3B14028 1802517C
	v_pk_mul_f32 v[42:43], v[124:125], v[42:43]                // 000000005948: D3B1402A 1802557C
	v_mul_f32_dpp v40, v129, v40 row_newbcast:12 row_mask:0xf bank_mask:0xf// 000000005950: 0A5050FA FF015C81
	v_mul_f32_dpp v41, v129, v41 row_newbcast:13 row_mask:0xf bank_mask:0xf// 000000005958: 0A5252FA FF015D81
	v_mul_f32_dpp v42, v129, v42 row_newbcast:14 row_mask:0xf bank_mask:0xf// 000000005960: 0A5454FA FF015E81
	v_mul_f32_dpp v43, v129, v43 row_newbcast:15 row_mask:0xf bank_mask:0xf// 000000005968: 0A5656FA FF015F81
	v_pk_mul_f32 v[44:45], v[126:127], v[44:45]                // 000000005970: D3B1402C 1802597E
	v_pk_mul_f32 v[46:47], v[126:127], v[46:47]                // 000000005978: D3B1402E 18025D7E
	v_mul_f32_dpp v44, v129, v44 row_newbcast:0 row_mask:0xf bank_mask:0xf// 000000005980: 0A5858FA FF015081
	v_mul_f32_dpp v45, v129, v45 row_newbcast:1 row_mask:0xf bank_mask:0xf// 000000005988: 0A5A5AFA FF015181
	v_mul_f32_dpp v46, v129, v46 row_newbcast:2 row_mask:0xf bank_mask:0xf// 000000005990: 0A5C5CFA FF015281
	v_mul_f32_dpp v47, v129, v47 row_newbcast:3 row_mask:0xf bank_mask:0xf// 000000005998: 0A5E5EFA FF015381
	v_pk_mul_f32 v[48:49], v[126:127], v[48:49]                // 0000000059A0: D3B14030 1802617E
	v_pk_mul_f32 v[50:51], v[126:127], v[50:51]                // 0000000059A8: D3B14032 1802657E
	v_mul_f32_dpp v48, v129, v48 row_newbcast:4 row_mask:0xf bank_mask:0xf// 0000000059B0: 0A6060FA FF015481
	v_mul_f32_dpp v49, v129, v49 row_newbcast:5 row_mask:0xf bank_mask:0xf// 0000000059B8: 0A6262FA FF015581
	v_mul_f32_dpp v50, v129, v50 row_newbcast:6 row_mask:0xf bank_mask:0xf// 0000000059C0: 0A6464FA FF015681
	v_mul_f32_dpp v51, v129, v51 row_newbcast:7 row_mask:0xf bank_mask:0xf// 0000000059C8: 0A6666FA FF015781
	v_pk_mul_f32 v[52:53], v[126:127], v[52:53]                // 0000000059D0: D3B14034 1802697E
	v_pk_mul_f32 v[54:55], v[126:127], v[54:55]                // 0000000059D8: D3B14036 18026D7E
	v_mul_f32_dpp v52, v129, v52 row_newbcast:8 row_mask:0xf bank_mask:0xf// 0000000059E0: 0A6868FA FF015881
	v_mul_f32_dpp v53, v129, v53 row_newbcast:9 row_mask:0xf bank_mask:0xf// 0000000059E8: 0A6A6AFA FF015981
	v_mul_f32_dpp v54, v129, v54 row_newbcast:10 row_mask:0xf bank_mask:0xf// 0000000059F0: 0A6C6CFA FF015A81
	v_mul_f32_dpp v55, v129, v55 row_newbcast:11 row_mask:0xf bank_mask:0xf// 0000000059F8: 0A6E6EFA FF015B81
	v_pk_mul_f32 v[56:57], v[126:127], v[56:57]                // 000000005A00: D3B14038 1802717E
	v_pk_mul_f32 v[58:59], v[126:127], v[58:59]                // 000000005A08: D3B1403A 1802757E
	v_mul_f32_dpp v56, v129, v56 row_newbcast:12 row_mask:0xf bank_mask:0xf// 000000005A10: 0A7070FA FF015C81
	v_mul_f32_dpp v57, v129, v57 row_newbcast:13 row_mask:0xf bank_mask:0xf// 000000005A18: 0A7272FA FF015D81
	v_mul_f32_dpp v58, v129, v58 row_newbcast:14 row_mask:0xf bank_mask:0xf// 000000005A20: 0A7474FA FF015E81
	v_mul_f32_dpp v59, v129, v59 row_newbcast:15 row_mask:0xf bank_mask:0xf// 000000005A28: 0A7676FA FF015F81
	v_mov_b32_e32 v150, v28                                    // 000000005A30: 7F2C031C
	v_max3_f32 v150, v28, v29, v150                            // 000000005A34: D1D30096 065A3B1C
	v_max3_f32 v150, v30, v31, v150                            // 000000005A3C: D1D30096 065A3F1E
	v_max3_f32 v150, v32, v33, v150                            // 000000005A44: D1D30096 065A4320
	v_max3_f32 v150, v34, v35, v150                            // 000000005A4C: D1D30096 065A4722
	v_max3_f32 v150, v36, v37, v150                            // 000000005A54: D1D30096 065A4B24
	v_max3_f32 v150, v38, v39, v150                            // 000000005A5C: D1D30096 065A4F26
	v_max3_f32 v150, v40, v41, v150                            // 000000005A64: D1D30096 065A5328
	v_max3_f32 v150, v42, v43, v150                            // 000000005A6C: D1D30096 065A572A
	v_mov_b32_e32 v151, v44                                    // 000000005A74: 7F2E032C
	v_max3_f32 v151, v44, v45, v151                            // 000000005A78: D1D30097 065E5B2C
	v_max3_f32 v151, v46, v47, v151                            // 000000005A80: D1D30097 065E5F2E
	v_max3_f32 v151, v48, v49, v151                            // 000000005A88: D1D30097 065E6330
	v_max3_f32 v151, v50, v51, v151                            // 000000005A90: D1D30097 065E6732
	v_max3_f32 v151, v52, v53, v151                            // 000000005A98: D1D30097 065E6B34
	v_max3_f32 v151, v54, v55, v151                            // 000000005AA0: D1D30097 065E6F36
	v_max3_f32 v151, v56, v57, v151                            // 000000005AA8: D1D30097 065E7338
	v_max3_f32 v151, v58, v59, v151                            // 000000005AB0: D1D30097 065E773A
	ds_write_b64 v220, v[150:151]                              // 000000005AB8: D89A0000 000096DC
	v_pk_mul_f32 v[108:109], v[142:143], v[108:109]            // 000000005AC0: D3B1406C 1802D98E
	v_pk_mul_f32 v[110:111], v[142:143], v[110:111]            // 000000005AC8: D3B1406E 1802DD8E
	v_pk_mul_f32 v[112:113], v[142:143], v[112:113]            // 000000005AD0: D3B14070 1802E18E
	v_pk_mul_f32 v[114:115], v[142:143], v[114:115]            // 000000005AD8: D3B14072 1802E58E
	v_pk_mul_f32 v[116:117], v[144:145], v[116:117]            // 000000005AE0: D3B14074 1802E990
	v_pk_mul_f32 v[118:119], v[144:145], v[118:119]            // 000000005AE8: D3B14076 1802ED90
	v_pk_mul_f32 v[120:121], v[144:145], v[120:121]            // 000000005AF0: D3B14078 1802F190
	v_pk_mul_f32 v[122:123], v[144:145], v[122:123]            // 000000005AF8: D3B1407A 1802F590
	s_waitcnt lgkmcnt(0)                                       // 000000005B00: BF8CC07F
	s_barrier                                                  // 000000005B04: BF8A0000
	ds_read_b64 v[154:155], v221                               // 000000005B08: D8EC0000 9A0000DD
	ds_read_b64 v[156:157], v221 offset:128                    // 000000005B10: D8EC0080 9C0000DD
	ds_read_b64 v[158:159], v221 offset:256                    // 000000005B18: D8EC0100 9E0000DD
	ds_read_b64 v[160:161], v221 offset:384                    // 000000005B20: D8EC0180 A00000DD
	ds_read_b64 v[162:163], v221 offset:512                    // 000000005B28: D8EC0200 A20000DD
	ds_read_b64 v[164:165], v221 offset:640                    // 000000005B30: D8EC0280 A40000DD
	ds_read_b64 v[166:167], v221 offset:768                    // 000000005B38: D8EC0300 A60000DD
	ds_read_b64 v[168:169], v221 offset:896                    // 000000005B40: D8EC0380 A80000DD
	ds_read_b64 v[170:171], v221 offset:1024                   // 000000005B48: D8EC0400 AA0000DD
	ds_read_b64 v[172:173], v221 offset:1152                   // 000000005B50: D8EC0480 AC0000DD
	ds_read_b64 v[174:175], v221 offset:1280                   // 000000005B58: D8EC0500 AE0000DD
	ds_read_b64 v[176:177], v221 offset:1408                   // 000000005B60: D8EC0580 B00000DD
	ds_read_b64 v[178:179], v221 offset:1536                   // 000000005B68: D8EC0600 B20000DD
	ds_read_b64 v[180:181], v221 offset:1664                   // 000000005B70: D8EC0680 B40000DD
	ds_read_b64 v[182:183], v221 offset:1792                   // 000000005B78: D8EC0700 B60000DD
	ds_read_b64 v[184:185], v221 offset:1920                   // 000000005B80: D8EC0780 B80000DD
	v_pk_mul_f32 v[92:93], v[132:133], v[92:93]                // 000000005B88: D3B1405C 1802B984
	v_pk_mul_f32 v[94:95], v[132:133], v[94:95]                // 000000005B90: D3B1405E 1802BD84
	v_pk_mul_f32 v[96:97], v[132:133], v[96:97]                // 000000005B98: D3B14060 1802C184
	v_pk_mul_f32 v[98:99], v[132:133], v[98:99]                // 000000005BA0: D3B14062 1802C584
	v_pk_mul_f32 v[100:101], v[134:135], v[100:101]            // 000000005BA8: D3B14064 1802C986
	v_pk_mul_f32 v[102:103], v[134:135], v[102:103]            // 000000005BB0: D3B14066 1802CD86
	v_pk_mul_f32 v[104:105], v[134:135], v[104:105]            // 000000005BB8: D3B14068 1802D186
	v_pk_mul_f32 v[106:107], v[134:135], v[106:107]            // 000000005BC0: D3B1406A 1802D586
	s_waitcnt lgkmcnt(0)                                       // 000000005BC8: BF8CC07F
	v_max3_f32 v150, v154, v156, v150                          // 000000005BCC: D1D30096 065B399A
	v_max3_f32 v151, v155, v157, v151                          // 000000005BD4: D1D30097 065F3B9B
	v_max3_f32 v150, v158, v160, v150                          // 000000005BDC: D1D30096 065B419E
	v_max3_f32 v151, v159, v161, v151                          // 000000005BE4: D1D30097 065F439F
	v_max3_f32 v150, v162, v164, v150                          // 000000005BEC: D1D30096 065B49A2
	v_max3_f32 v151, v163, v165, v151                          // 000000005BF4: D1D30097 065F4BA3
	v_max3_f32 v150, v166, v168, v150                          // 000000005BFC: D1D30096 065B51A6
	v_max3_f32 v151, v167, v169, v151                          // 000000005C04: D1D30097 065F53A7
	v_max3_f32 v150, v170, v172, v150                          // 000000005C0C: D1D30096 065B59AA
	v_max3_f32 v151, v171, v173, v151                          // 000000005C14: D1D30097 065F5BAB
	v_max3_f32 v150, v174, v176, v150                          // 000000005C1C: D1D30096 065B61AE
	v_max3_f32 v151, v175, v177, v151                          // 000000005C24: D1D30097 065F63AF
	v_max3_f32 v150, v178, v180, v150                          // 000000005C2C: D1D30096 065B69B2
	v_max3_f32 v151, v179, v181, v151                          // 000000005C34: D1D30097 065F6BB3
	v_max3_f32 v150, v182, v184, v150                          // 000000005C3C: D1D30096 065B71B6
	v_max3_f32 v151, v183, v185, v151                          // 000000005C44: D1D30097 065F73B7
	v_max_f32_e32 v140, v150, v138                             // 000000005C4C: 17191596
	v_mul_f32_e64 v186, -s46, v140                             // 000000005C50: D10500BA 2003182E
	v_mov_b32_e32 v187, v186                                   // 000000005C58: 7F7603BA
	v_pk_fma_f32 v[28:29], v[28:29], s[46:47], v[186:187]      // 000000005C5C: D3B0401C 1EE85D1C
	v_pk_fma_f32 v[30:31], v[30:31], s[46:47], v[186:187]      // 000000005C64: D3B0401E 1EE85D1E
	v_exp_f32_e32 v28, v28                                     // 000000005C6C: 7E38411C
	v_exp_f32_e32 v29, v29                                     // 000000005C70: 7E3A411D
	v_exp_f32_e32 v30, v30                                     // 000000005C74: 7E3C411E
	v_exp_f32_e32 v31, v31                                     // 000000005C78: 7E3E411F
	v_pk_fma_f32 v[32:33], v[32:33], s[46:47], v[186:187]      // 000000005C7C: D3B04020 1EE85D20
	v_pk_fma_f32 v[34:35], v[34:35], s[46:47], v[186:187]      // 000000005C84: D3B04022 1EE85D22
	v_exp_f32_e32 v32, v32                                     // 000000005C8C: 7E404120
	v_exp_f32_e32 v33, v33                                     // 000000005C90: 7E424121
	v_exp_f32_e32 v34, v34                                     // 000000005C94: 7E444122
	v_exp_f32_e32 v35, v35                                     // 000000005C98: 7E464123
	v_pk_fma_f32 v[36:37], v[36:37], s[46:47], v[186:187]      // 000000005C9C: D3B04024 1EE85D24
	v_pk_fma_f32 v[38:39], v[38:39], s[46:47], v[186:187]      // 000000005CA4: D3B04026 1EE85D26
	v_exp_f32_e32 v36, v36                                     // 000000005CAC: 7E484124
	v_exp_f32_e32 v37, v37                                     // 000000005CB0: 7E4A4125
	v_exp_f32_e32 v38, v38                                     // 000000005CB4: 7E4C4126
	v_exp_f32_e32 v39, v39                                     // 000000005CB8: 7E4E4127
	v_pk_fma_f32 v[40:41], v[40:41], s[46:47], v[186:187]      // 000000005CBC: D3B04028 1EE85D28
	v_pk_fma_f32 v[42:43], v[42:43], s[46:47], v[186:187]      // 000000005CC4: D3B0402A 1EE85D2A
	v_exp_f32_e32 v40, v40                                     // 000000005CCC: 7E504128
	v_exp_f32_e32 v41, v41                                     // 000000005CD0: 7E524129
	v_exp_f32_e32 v42, v42                                     // 000000005CD4: 7E54412A
	v_exp_f32_e32 v43, v43                                     // 000000005CD8: 7E56412B
	v_max_f32_e32 v141, v151, v139                             // 000000005CDC: 171B1797
	v_mul_f32_e64 v186, -s46, v141                             // 000000005CE0: D10500BA 20031A2E
	v_mov_b32_e32 v187, v186                                   // 000000005CE8: 7F7603BA
	v_pk_fma_f32 v[44:45], v[44:45], s[46:47], v[186:187]      // 000000005CEC: D3B0402C 1EE85D2C
	v_pk_fma_f32 v[46:47], v[46:47], s[46:47], v[186:187]      // 000000005CF4: D3B0402E 1EE85D2E
	v_exp_f32_e32 v44, v44                                     // 000000005CFC: 7E58412C
	v_exp_f32_e32 v45, v45                                     // 000000005D00: 7E5A412D
	v_exp_f32_e32 v46, v46                                     // 000000005D04: 7E5C412E
	v_exp_f32_e32 v47, v47                                     // 000000005D08: 7E5E412F
	v_pk_fma_f32 v[48:49], v[48:49], s[46:47], v[186:187]      // 000000005D0C: D3B04030 1EE85D30
	v_pk_fma_f32 v[50:51], v[50:51], s[46:47], v[186:187]      // 000000005D14: D3B04032 1EE85D32
	v_exp_f32_e32 v48, v48                                     // 000000005D1C: 7E604130
	v_exp_f32_e32 v49, v49                                     // 000000005D20: 7E624131
	v_exp_f32_e32 v50, v50                                     // 000000005D24: 7E644132
	v_exp_f32_e32 v51, v51                                     // 000000005D28: 7E664133
	v_pk_fma_f32 v[52:53], v[52:53], s[46:47], v[186:187]      // 000000005D2C: D3B04034 1EE85D34
	v_pk_fma_f32 v[54:55], v[54:55], s[46:47], v[186:187]      // 000000005D34: D3B04036 1EE85D36
	v_exp_f32_e32 v52, v52                                     // 000000005D3C: 7E684134
	v_exp_f32_e32 v53, v53                                     // 000000005D40: 7E6A4135
	v_exp_f32_e32 v54, v54                                     // 000000005D44: 7E6C4136
	v_exp_f32_e32 v55, v55                                     // 000000005D48: 7E6E4137
	v_pk_fma_f32 v[56:57], v[56:57], s[46:47], v[186:187]      // 000000005D4C: D3B04038 1EE85D38
	v_pk_fma_f32 v[58:59], v[58:59], s[46:47], v[186:187]      // 000000005D54: D3B0403A 1EE85D3A
	v_exp_f32_e32 v56, v56                                     // 000000005D5C: 7E704138
	v_exp_f32_e32 v57, v57                                     // 000000005D60: 7E724139
	v_exp_f32_e32 v58, v58                                     // 000000005D64: 7E74413A
	v_exp_f32_e32 v59, v59                                     // 000000005D68: 7E76413B
	v_mul_f32_dpp v60, v131, v28 row_newbcast:0 row_mask:0xf bank_mask:0xf// 000000005D6C: 0A7838FA FF015083
	v_mul_f32_dpp v61, v131, v29 row_newbcast:1 row_mask:0xf bank_mask:0xf// 000000005D74: 0A7A3AFA FF015183
	v_mul_f32_dpp v62, v131, v30 row_newbcast:2 row_mask:0xf bank_mask:0xf// 000000005D7C: 0A7C3CFA FF015283
	v_mul_f32_dpp v63, v131, v31 row_newbcast:3 row_mask:0xf bank_mask:0xf// 000000005D84: 0A7E3EFA FF015383
	v_mul_f32_dpp v64, v131, v32 row_newbcast:4 row_mask:0xf bank_mask:0xf// 000000005D8C: 0A8040FA FF015483
	v_mul_f32_dpp v65, v131, v33 row_newbcast:5 row_mask:0xf bank_mask:0xf// 000000005D94: 0A8242FA FF015583
	v_mul_f32_dpp v66, v131, v34 row_newbcast:6 row_mask:0xf bank_mask:0xf// 000000005D9C: 0A8444FA FF015683
	v_mul_f32_dpp v67, v131, v35 row_newbcast:7 row_mask:0xf bank_mask:0xf// 000000005DA4: 0A8646FA FF015783
	v_mul_f32_dpp v68, v131, v36 row_newbcast:8 row_mask:0xf bank_mask:0xf// 000000005DAC: 0A8848FA FF015883
	v_mul_f32_dpp v69, v131, v37 row_newbcast:9 row_mask:0xf bank_mask:0xf// 000000005DB4: 0A8A4AFA FF015983
	v_mul_f32_dpp v70, v131, v38 row_newbcast:10 row_mask:0xf bank_mask:0xf// 000000005DBC: 0A8C4CFA FF015A83
	v_mul_f32_dpp v71, v131, v39 row_newbcast:11 row_mask:0xf bank_mask:0xf// 000000005DC4: 0A8E4EFA FF015B83
	v_mul_f32_dpp v72, v131, v40 row_newbcast:12 row_mask:0xf bank_mask:0xf// 000000005DCC: 0A9050FA FF015C83
	v_mul_f32_dpp v73, v131, v41 row_newbcast:13 row_mask:0xf bank_mask:0xf// 000000005DD4: 0A9252FA FF015D83
	v_mul_f32_dpp v74, v131, v42 row_newbcast:14 row_mask:0xf bank_mask:0xf// 000000005DDC: 0A9454FA FF015E83
	v_mul_f32_dpp v75, v131, v43 row_newbcast:15 row_mask:0xf bank_mask:0xf// 000000005DE4: 0A9656FA FF015F83
	v_mul_f32_dpp v76, v131, v44 row_newbcast:0 row_mask:0xf bank_mask:0xf// 000000005DEC: 0A9858FA FF015083
	v_mul_f32_dpp v77, v131, v45 row_newbcast:1 row_mask:0xf bank_mask:0xf// 000000005DF4: 0A9A5AFA FF015183
	v_mul_f32_dpp v78, v131, v46 row_newbcast:2 row_mask:0xf bank_mask:0xf// 000000005DFC: 0A9C5CFA FF015283
	v_mul_f32_dpp v79, v131, v47 row_newbcast:3 row_mask:0xf bank_mask:0xf// 000000005E04: 0A9E5EFA FF015383
	v_mul_f32_dpp v80, v131, v48 row_newbcast:4 row_mask:0xf bank_mask:0xf// 000000005E0C: 0AA060FA FF015483
	v_mul_f32_dpp v81, v131, v49 row_newbcast:5 row_mask:0xf bank_mask:0xf// 000000005E14: 0AA262FA FF015583
	v_mul_f32_dpp v82, v131, v50 row_newbcast:6 row_mask:0xf bank_mask:0xf// 000000005E1C: 0AA464FA FF015683
	v_mul_f32_dpp v83, v131, v51 row_newbcast:7 row_mask:0xf bank_mask:0xf// 000000005E24: 0AA666FA FF015783
	v_mul_f32_dpp v84, v131, v52 row_newbcast:8 row_mask:0xf bank_mask:0xf// 000000005E2C: 0AA868FA FF015883
	v_mul_f32_dpp v85, v131, v53 row_newbcast:9 row_mask:0xf bank_mask:0xf// 000000005E34: 0AAA6AFA FF015983
	v_mul_f32_dpp v86, v131, v54 row_newbcast:10 row_mask:0xf bank_mask:0xf// 000000005E3C: 0AAC6CFA FF015A83
	v_mul_f32_dpp v87, v131, v55 row_newbcast:11 row_mask:0xf bank_mask:0xf// 000000005E44: 0AAE6EFA FF015B83
	v_mul_f32_dpp v88, v131, v56 row_newbcast:12 row_mask:0xf bank_mask:0xf// 000000005E4C: 0AB070FA FF015C83
	v_mul_f32_dpp v89, v131, v57 row_newbcast:13 row_mask:0xf bank_mask:0xf// 000000005E54: 0AB272FA FF015D83
	v_mul_f32_dpp v90, v131, v58 row_newbcast:14 row_mask:0xf bank_mask:0xf// 000000005E5C: 0AB474FA FF015E83
	v_mul_f32_dpp v91, v131, v59 row_newbcast:15 row_mask:0xf bank_mask:0xf// 000000005E64: 0AB676FA FF015F83
	buffer_load_dword v128, v208, s[20:23], 0 offen            // 000000005E6C: E0501000 800580D0
	v_sub_f32_e32 v142, v138, v140                             // 000000005E74: 051D198A
	v_cmp_eq_u32_e64 s[98:99], v197, v138                      // 000000005E78: D0CA0062 000315C5
	v_cndmask_b32_e64 v142, v142, 0, s[98:99]                  // 000000005E80: D100008E 0189018E
	v_mov_b32_e32 v138, v140                                   // 000000005E88: 7F14038C
	v_mul_f32_e32 v142, s46, v142                              // 000000005E8C: 0B1D1C2E
	v_exp_f32_e32 v142, v142                                   // 000000005E90: 7F1C418E
	v_sub_f32_e32 v144, v139, v141                             // 000000005E94: 05211B8B
	v_cmp_eq_u32_e64 s[98:99], v197, v139                      // 000000005E98: D0CA0062 000317C5
	v_cndmask_b32_e64 v144, v144, 0, s[98:99]                  // 000000005EA0: D1000090 01890190
	v_mov_b32_e32 v139, v141                                   // 000000005EA8: 7F16038D
	v_mul_f32_e32 v144, s46, v144                              // 000000005EAC: 0B21202E
	v_exp_f32_e32 v144, v144                                   // 000000005EB0: 7F204190
	v_mov_b32_e32 v143, v142                                   // 000000005EB4: 7F1E038E
	v_mov_b32_e32 v145, v144                                   // 000000005EB8: 7F220390
	buffer_load_dword v130, v209, s[24:27], 0 offen            // 000000005EBC: E0501000 800682D1
	s_waitcnt lgkmcnt(0)                                       // 000000005EC4: BF8CC07F
	s_barrier                                                  // 000000005EC8: BF8A0000
	v_mul_f32_e32 v146, v142, v146                             // 000000005ECC: 0B25258E
	v_mov_b32_e32 v147, 0                                      // 000000005ED0: 7F260280
	v_pk_add_f32 v[146:147], v[28:29], v[146:147]              // 000000005ED4: D3B24092 1803251C
	v_pk_add_f32 v[146:147], v[30:31], v[146:147]              // 000000005EDC: D3B24092 1803251E
	v_pk_add_f32 v[146:147], v[32:33], v[146:147]              // 000000005EE4: D3B24092 18032520
	v_pk_add_f32 v[146:147], v[34:35], v[146:147]              // 000000005EEC: D3B24092 18032522
	v_pk_add_f32 v[146:147], v[36:37], v[146:147]              // 000000005EF4: D3B24092 18032524
	v_pk_add_f32 v[146:147], v[38:39], v[146:147]              // 000000005EFC: D3B24092 18032526
	v_pk_add_f32 v[146:147], v[40:41], v[146:147]              // 000000005F04: D3B24092 18032528
	v_pk_add_f32 v[146:147], v[42:43], v[146:147]              // 000000005F0C: D3B24092 1803252A
	v_add_f32_e32 v146, v147, v146                             // 000000005F14: 03252593
	v_mul_f32_e32 v148, v144, v148                             // 000000005F18: 0B292990
	v_mov_b32_e32 v149, 0                                      // 000000005F1C: 7F2A0280
	v_pk_add_f32 v[148:149], v[44:45], v[148:149]              // 000000005F20: D3B24094 1803292C
	v_pk_add_f32 v[148:149], v[46:47], v[148:149]              // 000000005F28: D3B24094 1803292E
	v_pk_add_f32 v[148:149], v[48:49], v[148:149]              // 000000005F30: D3B24094 18032930
	v_pk_add_f32 v[148:149], v[50:51], v[148:149]              // 000000005F38: D3B24094 18032932
	v_pk_add_f32 v[148:149], v[52:53], v[148:149]              // 000000005F40: D3B24094 18032934
	v_pk_add_f32 v[148:149], v[54:55], v[148:149]              // 000000005F48: D3B24094 18032936
	v_pk_add_f32 v[148:149], v[56:57], v[148:149]              // 000000005F50: D3B24094 18032938
	v_pk_add_f32 v[148:149], v[58:59], v[148:149]              // 000000005F58: D3B24094 1803293A
	v_add_f32_e32 v148, v149, v148                             // 000000005F60: 03292995
	s_waitcnt lgkmcnt(0)                                       // 000000005F64: BF8CC07F
	v_sub_f32_e32 v150, v150, v138                             // 000000005F68: 052D1596
	v_sub_f32_e32 v151, v151, v139                             // 000000005F6C: 052F1797
	v_mul_f32_e32 v150, s46, v150                              // 000000005F70: 0B2D2C2E
	v_mul_f32_e32 v151, s46, v151                              // 000000005F74: 0B2F2E2E
	v_exp_f32_e32 v150, v150                                   // 000000005F78: 7F2C4196
	v_exp_f32_e32 v151, v151                                   // 000000005F7C: 7F2E4197
	v_mul_f32_e32 v150, v131, v150                             // 000000005F80: 0B2D2D83
	v_mul_f32_e32 v151, v131, v151                             // 000000005F84: 0B2F2F83
	v_add_f32_e32 v150, 0x3089705f, v150                       // 000000005F88: 032D2CFF 3089705F
	v_add_f32_e32 v151, 0x3089705f, v151                       // 000000005F90: 032F2EFF 3089705F
	v_rcp_f32_e32 v150, v150                                   // 000000005F98: 7F2C4596
	v_rcp_f32_e32 v151, v151                                   // 000000005F9C: 7F2E4597
	v_mul_f32_e32 v150, 0x43700000, v150                       // 000000005FA0: 0B2D2CFF 43700000
	v_mul_f32_e32 v151, 0x43700000, v151                       // 000000005FA8: 0B2F2EFF 43700000
	v_mov_b32_e32 v152, v151                                   // 000000005FB0: 7F300397
	v_mov_b32_e32 v153, v151                                   // 000000005FB4: 7F320397
	v_mov_b32_e32 v151, v150                                   // 000000005FB8: 7F2E0396
	v_pk_mul_f32 v[28:29], v[150:151], v[60:61]                // 000000005FBC: D3B1401C 18027996
	v_pk_mul_f32 v[30:31], v[150:151], v[62:63]                // 000000005FC4: D3B1401E 18027D96
	v_pk_mul_f32 v[32:33], v[150:151], v[64:65]                // 000000005FCC: D3B14020 18028196
	v_pk_mul_f32 v[34:35], v[150:151], v[66:67]                // 000000005FD4: D3B14022 18028596
	v_pk_mul_f32 v[36:37], v[150:151], v[68:69]                // 000000005FDC: D3B14024 18028996
	v_pk_mul_f32 v[38:39], v[150:151], v[70:71]                // 000000005FE4: D3B14026 18028D96
	v_pk_mul_f32 v[40:41], v[150:151], v[72:73]                // 000000005FEC: D3B14028 18029196
	v_pk_mul_f32 v[42:43], v[150:151], v[74:75]                // 000000005FF4: D3B1402A 18029596
	v_pk_mul_f32 v[44:45], v[152:153], v[76:77]                // 000000005FFC: D3B1402C 18029998
	v_pk_mul_f32 v[46:47], v[152:153], v[78:79]                // 000000006004: D3B1402E 18029D98
	v_pk_mul_f32 v[48:49], v[152:153], v[80:81]                // 00000000600C: D3B14030 1802A198
	v_pk_mul_f32 v[50:51], v[152:153], v[82:83]                // 000000006014: D3B14032 1802A598
	v_pk_mul_f32 v[52:53], v[152:153], v[84:85]                // 00000000601C: D3B14034 1802A998
	v_pk_mul_f32 v[54:55], v[152:153], v[86:87]                // 000000006024: D3B14036 1802AD98
	v_pk_mul_f32 v[56:57], v[152:153], v[88:89]                // 00000000602C: D3B14038 1802B198
	v_pk_mul_f32 v[58:59], v[152:153], v[90:91]                // 000000006034: D3B1403A 1802B598
	v_cvt_pk_fp8_f32 v28, v28, v29                             // 00000000603C: D2A2001C 00023B1C
	v_cvt_pk_fp8_f32 v28, v30, v31 op_sel:[0,0,1]              // 000000006044: D2A2401C 00023F1E
	v_cvt_pk_fp8_f32 v29, v32, v33                             // 00000000604C: D2A2001D 00024320
	v_cvt_pk_fp8_f32 v29, v34, v35 op_sel:[0,0,1]              // 000000006054: D2A2401D 00024722
	v_cvt_pk_fp8_f32 v30, v36, v37                             // 00000000605C: D2A2001E 00024B24
	v_cvt_pk_fp8_f32 v30, v38, v39 op_sel:[0,0,1]              // 000000006064: D2A2401E 00024F26
	v_cvt_pk_fp8_f32 v31, v40, v41                             // 00000000606C: D2A2001F 00025328
	v_cvt_pk_fp8_f32 v31, v42, v43 op_sel:[0,0,1]              // 000000006074: D2A2401F 0002572A
	v_cvt_pk_fp8_f32 v32, v44, v45                             // 00000000607C: D2A20020 00025B2C
	v_cvt_pk_fp8_f32 v32, v46, v47 op_sel:[0,0,1]              // 000000006084: D2A24020 00025F2E
	v_cvt_pk_fp8_f32 v33, v48, v49                             // 00000000608C: D2A20021 00026330
	v_cvt_pk_fp8_f32 v33, v50, v51 op_sel:[0,0,1]              // 000000006094: D2A24021 00026732
	v_cvt_pk_fp8_f32 v34, v52, v53                             // 00000000609C: D2A20022 00026B34
	v_cvt_pk_fp8_f32 v34, v54, v55 op_sel:[0,0,1]              // 0000000060A4: D2A24022 00026F36
	v_cvt_pk_fp8_f32 v35, v56, v57                             // 0000000060AC: D2A20023 00027338
	v_cvt_pk_fp8_f32 v35, v58, v59 op_sel:[0,0,1]              // 0000000060B4: D2A24023 0002773A
	ds_write_b32 v222, v28 offset:4608                         // 0000000060BC: D81A1200 00001CDE
	ds_write_b32 v222, v29 offset:5632                         // 0000000060C4: D81A1600 00001DDE
	ds_write_b32 v222, v30 offset:6656                         // 0000000060CC: D81A1A00 00001EDE
	ds_write_b32 v222, v31 offset:7680                         // 0000000060D4: D81A1E00 00001FDE
	ds_write_b32 v222, v32 offset:8704                         // 0000000060DC: D81A2200 000020DE
	ds_write_b32 v222, v33 offset:9728                         // 0000000060E4: D81A2600 000021DE
	ds_write_b32 v222, v34 offset:10752                        // 0000000060EC: D81A2A00 000022DE
	ds_write_b32 v222, v35 offset:11776                        // 0000000060F4: D81A2E00 000023DE
	v_rcp_f32_e32 v132, v150                                   // 0000000060FC: 7F084596
	v_rcp_f32_e32 v134, v152                                   // 000000006100: 7F0C4598
	v_mov_b32_e32 v133, v132                                   // 000000006104: 7F0A0384
	v_mov_b32_e32 v135, v134                                   // 000000006108: 7F0E0386
	v_pk_add_f32 v[108:109], v[108:109], v[92:93]              // 00000000610C: D3B2406C 1802B96C
	v_pk_add_f32 v[110:111], v[110:111], v[94:95]              // 000000006114: D3B2406E 1802BD6E
	v_pk_add_f32 v[112:113], v[112:113], v[96:97]              // 00000000611C: D3B24070 1802C170
	v_pk_add_f32 v[114:115], v[114:115], v[98:99]              // 000000006124: D3B24072 1802C572
	v_pk_add_f32 v[116:117], v[116:117], v[100:101]            // 00000000612C: D3B24074 1802C974
	v_pk_add_f32 v[118:119], v[118:119], v[102:103]            // 000000006134: D3B24076 1802CD76
	v_pk_add_f32 v[120:121], v[120:121], v[104:105]            // 00000000613C: D3B24078 1802D178
	v_pk_add_f32 v[122:123], v[122:123], v[106:107]            // 000000006144: D3B2407A 1802D57A
	s_waitcnt lgkmcnt(0)                                       // 00000000614C: BF8CC07F
	s_barrier                                                  // 000000006150: BF8A0000
	ds_read_b128 v[28:31], v223 offset:4608                    // 000000006154: D9FE1200 1C0000DF
	ds_read_b128 v[32:35], v223 offset:5632                    // 00000000615C: D9FE1600 200000DF
	ds_read_b128 v[36:39], v223 offset:6656                    // 000000006164: D9FE1A00 240000DF
	ds_read_b128 v[40:43], v223 offset:7680                    // 00000000616C: D9FE1E00 280000DF
	ds_read_b128 v[44:47], v223 offset:8704                    // 000000006174: D9FE2200 2C0000DF
	ds_read_b128 v[48:51], v223 offset:9728                    // 00000000617C: D9FE2600 300000DF
	ds_read_b128 v[52:55], v223 offset:10752                   // 000000006184: D9FE2A00 340000DF
	ds_read_b128 v[56:59], v223 offset:11776                   // 00000000618C: D9FE2E00 380000DF
	s_waitcnt vmcnt(10)                                        // 000000006194: BF8C0F7A
	s_waitcnt lgkmcnt(7)                                       // 000000006198: BF8CC77F
	v_mfma_f32_16x16x32_fp8_fp8 v[92:95], a[96:97], v[28:29], 0// 00000000619C: D3F3005C 0A023960
	v_mfma_f32_16x16x32_fp8_fp8 v[96:99], a[112:113], v[28:29], 0// 0000000061A4: D3F30060 0A023970
	v_mfma_f32_16x16x32_fp8_fp8 v[92:95], a[98:99], v[30:31], v[92:95]// 0000000061AC: D3F3005C 0D723D62
	buffer_load_dwordx4 a[64:67], v204, s[16:19], 0 offen      // 0000000061B4: E05C1000 808440CC
	v_mfma_f32_16x16x32_fp8_fp8 v[96:99], a[114:115], v[30:31], v[96:99]// 0000000061BC: D3F30060 0D823D72
	s_waitcnt lgkmcnt(6)                                       // 0000000061C4: BF8CC67F
	v_mfma_f32_16x16x32_fp8_fp8 v[92:95], a[100:101], v[32:33], v[92:95]// 0000000061C8: D3F3005C 0D724164
	v_mfma_f32_16x16x32_fp8_fp8 v[96:99], a[116:117], v[32:33], v[96:99]// 0000000061D0: D3F30060 0D824174
	v_mfma_f32_16x16x32_fp8_fp8 v[92:95], a[102:103], v[34:35], v[92:95]// 0000000061D8: D3F3005C 0D724566
	buffer_load_dwordx4 a[68:71], v205, s[16:19], 0 offen      // 0000000061E0: E05C1000 808444CD
	v_mfma_f32_16x16x32_fp8_fp8 v[96:99], a[118:119], v[34:35], v[96:99]// 0000000061E8: D3F30060 0D824576
	s_waitcnt lgkmcnt(5)                                       // 0000000061F0: BF8CC57F
	v_mfma_f32_16x16x32_fp8_fp8 v[92:95], a[104:105], v[36:37], v[92:95]// 0000000061F4: D3F3005C 0D724968
	v_mfma_f32_16x16x32_fp8_fp8 v[96:99], a[120:121], v[36:37], v[96:99]// 0000000061FC: D3F30060 0D824978
	v_mfma_f32_16x16x32_fp8_fp8 v[92:95], a[106:107], v[38:39], v[92:95]// 000000006204: D3F3005C 0D724D6A
	buffer_load_dwordx4 a[72:75], v206, s[16:19], 0 offen      // 00000000620C: E05C1000 808448CE
	v_mfma_f32_16x16x32_fp8_fp8 v[96:99], a[122:123], v[38:39], v[96:99]// 000000006214: D3F30060 0D824D7A
	s_waitcnt lgkmcnt(4)                                       // 00000000621C: BF8CC47F
	v_mfma_f32_16x16x32_fp8_fp8 v[92:95], a[108:109], v[40:41], v[92:95]// 000000006220: D3F3005C 0D72516C
	v_mfma_f32_16x16x32_fp8_fp8 v[96:99], a[124:125], v[40:41], v[96:99]// 000000006228: D3F30060 0D82517C
	v_mfma_f32_16x16x32_fp8_fp8 v[92:95], a[110:111], v[42:43], v[92:95]// 000000006230: D3F3005C 0D72556E
	buffer_load_dwordx4 a[76:79], v207, s[16:19], 0 offen      // 000000006238: E05C1000 80844CCF
	v_mfma_f32_16x16x32_fp8_fp8 v[96:99], a[126:127], v[42:43], v[96:99]// 000000006240: D3F30060 0D82557E
	s_waitcnt lgkmcnt(3)                                       // 000000006248: BF8CC37F
	v_mfma_f32_16x16x32_fp8_fp8 v[100:103], a[96:97], v[44:45], 0// 00000000624C: D3F30064 0A025960
	v_mfma_f32_16x16x32_fp8_fp8 v[104:107], a[112:113], v[44:45], 0// 000000006254: D3F30068 0A025970
	v_mfma_f32_16x16x32_fp8_fp8 v[100:103], a[98:99], v[46:47], v[100:103]// 00000000625C: D3F30064 0D925D62
	buffer_load_dwordx4 a[80:83], v204, s[16:19], 0 offen offset:1024// 000000006264: E05C1400 808450CC
	v_mfma_f32_16x16x32_fp8_fp8 v[104:107], a[114:115], v[46:47], v[104:107]// 00000000626C: D3F30068 0DA25D72
	s_waitcnt lgkmcnt(2)                                       // 000000006274: BF8CC27F
	v_mfma_f32_16x16x32_fp8_fp8 v[100:103], a[100:101], v[48:49], v[100:103]// 000000006278: D3F30064 0D926164
	v_mfma_f32_16x16x32_fp8_fp8 v[104:107], a[116:117], v[48:49], v[104:107]// 000000006280: D3F30068 0DA26174
	v_mfma_f32_16x16x32_fp8_fp8 v[100:103], a[102:103], v[50:51], v[100:103]// 000000006288: D3F30064 0D926566
	buffer_load_dwordx4 a[84:87], v205, s[16:19], 0 offen offset:1024// 000000006290: E05C1400 808454CD
	v_mfma_f32_16x16x32_fp8_fp8 v[104:107], a[118:119], v[50:51], v[104:107]// 000000006298: D3F30068 0DA26576
	s_waitcnt lgkmcnt(1)                                       // 0000000062A0: BF8CC17F
	v_mfma_f32_16x16x32_fp8_fp8 v[100:103], a[104:105], v[52:53], v[100:103]// 0000000062A4: D3F30064 0D926968
	v_mfma_f32_16x16x32_fp8_fp8 v[104:107], a[120:121], v[52:53], v[104:107]// 0000000062AC: D3F30068 0DA26978
	v_mfma_f32_16x16x32_fp8_fp8 v[100:103], a[106:107], v[54:55], v[100:103]// 0000000062B4: D3F30064 0D926D6A
	buffer_load_dwordx4 a[88:91], v206, s[16:19], 0 offen offset:1024// 0000000062BC: E05C1400 808458CE
	v_mfma_f32_16x16x32_fp8_fp8 v[104:107], a[122:123], v[54:55], v[104:107]// 0000000062C4: D3F30068 0DA26D7A
	s_waitcnt lgkmcnt(0)                                       // 0000000062CC: BF8CC07F
	v_mfma_f32_16x16x32_fp8_fp8 v[100:103], a[108:109], v[56:57], v[100:103]// 0000000062D0: D3F30064 0D92716C
	v_mfma_f32_16x16x32_fp8_fp8 v[104:107], a[124:125], v[56:57], v[104:107]// 0000000062D8: D3F30068 0DA2717C
	v_mfma_f32_16x16x32_fp8_fp8 v[100:103], a[110:111], v[58:59], v[100:103]// 0000000062E0: D3F30064 0D92756E
	buffer_load_dwordx4 a[92:95], v207, s[16:19], 0 offen offset:1024// 0000000062E8: E05C1400 80845CCF
	v_mfma_f32_16x16x32_fp8_fp8 v[104:107], a[126:127], v[58:59], v[104:107]// 0000000062F0: D3F30068 0DA2757E
	s_addk_i32 s64, 0x100                                      // 0000000062F8: B7400100
	s_branch label_036A                                        // 0000000062FC: BF82F42A

0000000000006300 <label_0F40>:
	s_cmp_lt_i32 s64, s63                                      // 000000006300: BF043F40
	s_cbranch_scc0 label_1B16                                  // 000000006304: BF840BD4
	s_waitcnt vmcnt(10)                                        // 000000006308: BF8C0F7A
	v_mfma_f32_16x16x32_fp8_fp8 v[28:31], a[0:1], v[12:13], 0  // 00000000630C: D3F3001C 0A021900
	s_add_u32 s12, s86, s69                                    // 000000006314: 800C4556
	s_addc_u32 s13, s87, 0                                     // 000000006318: 820D8057
	v_mfma_f32_16x16x32_fp8_fp8 v[28:31], a[2:3], v[14:15], v[28:31]// 00000000631C: D3F3001C 0C721D02
	s_add_u32 s16, s88, s70                                    // 000000006324: 80104658
	s_addc_u32 s17, s89, 0                                     // 000000006328: 82118059
	v_mfma_f32_16x16x32_fp8_fp8 v[28:31], a[4:5], v[16:17], v[28:31]// 00000000632C: D3F3001C 0C722104
	buffer_load_dwordx4 a[32:35], v202, s[12:15], 0 offen      // 000000006334: E05C1000 808320CA
	v_mfma_f32_16x16x32_fp8_fp8 v[28:31], a[6:7], v[18:19], v[28:31]// 00000000633C: D3F3001C 0C722506
	s_add_u32 s20, s90, s71                                    // 000000006344: 8014475A
	s_addc_u32 s21, s91, 0                                     // 000000006348: 8215805B
	v_mfma_f32_16x16x32_fp8_fp8 v[32:35], a[8:9], v[12:13], 0  // 00000000634C: D3F30020 0A021908
	s_add_u32 s24, s92, s71                                    // 000000006354: 8018475C
	s_addc_u32 s25, s93, 0                                     // 000000006358: 8219805D
	v_mfma_f32_16x16x32_fp8_fp8 v[32:35], a[10:11], v[14:15], v[32:35]// 00000000635C: D3F30020 0C821D0A
	s_add_u32 s69, s69, 0x1000                                 // 000000006364: 8045FF45 00001000
	s_add_u32 s70, s70, 0x8000                                 // 00000000636C: 8046FF46 00008000
	v_mfma_f32_16x16x32_fp8_fp8 v[32:35], a[12:13], v[16:17], v[32:35]// 000000006374: D3F30020 0C82210C
	buffer_load_dwordx4 a[36:39], v203, s[12:15], 0 offen      // 00000000637C: E05C1000 808324CB
	v_mfma_f32_16x16x32_fp8_fp8 v[32:35], a[14:15], v[18:19], v[32:35]// 000000006384: D3F30020 0C82250E
	v_mfma_f32_16x16x32_fp8_fp8 v[36:39], a[16:17], v[12:13], 0// 00000000638C: D3F30024 0A021910
	v_mfma_f32_16x16x32_fp8_fp8 v[36:39], a[18:19], v[14:15], v[36:39]// 000000006394: D3F30024 0C921D12
	v_mfma_f32_16x16x32_fp8_fp8 v[36:39], a[20:21], v[16:17], v[36:39]// 00000000639C: D3F30024 0C922114
	buffer_load_dwordx4 a[40:43], v202, s[12:15], 0 offen offset:1024// 0000000063A4: E05C1400 808328CA
	v_mfma_f32_16x16x32_fp8_fp8 v[36:39], a[22:23], v[18:19], v[36:39]// 0000000063AC: D3F30024 0C922516
	v_mfma_f32_16x16x32_fp8_fp8 v[40:43], a[24:25], v[12:13], 0// 0000000063B4: D3F30028 0A021918
	v_mfma_f32_16x16x32_fp8_fp8 v[40:43], a[26:27], v[14:15], v[40:43]// 0000000063BC: D3F30028 0CA21D1A
	v_mfma_f32_16x16x32_fp8_fp8 v[40:43], a[28:29], v[16:17], v[40:43]// 0000000063C4: D3F30028 0CA2211C
	buffer_load_dwordx4 a[44:47], v203, s[12:15], 0 offen offset:1024// 0000000063CC: E05C1400 80832CCB
	v_mfma_f32_16x16x32_fp8_fp8 v[40:43], a[30:31], v[18:19], v[40:43]// 0000000063D4: D3F30028 0CA2251E
	v_mfma_f32_16x16x32_fp8_fp8 v[44:47], a[0:1], v[20:21], 0  // 0000000063DC: D3F3002C 0A022900
	v_mfma_f32_16x16x32_fp8_fp8 v[44:47], a[2:3], v[22:23], v[44:47]// 0000000063E4: D3F3002C 0CB22D02
	v_mfma_f32_16x16x32_fp8_fp8 v[44:47], a[4:5], v[24:25], v[44:47]// 0000000063EC: D3F3002C 0CB23104
	buffer_load_dwordx4 a[48:51], v202, s[12:15], 0 offen offset:2048// 0000000063F4: E05C1800 808330CA
	v_mfma_f32_16x16x32_fp8_fp8 v[44:47], a[6:7], v[26:27], v[44:47]// 0000000063FC: D3F3002C 0CB23506
	v_mfma_f32_16x16x32_fp8_fp8 v[48:51], a[8:9], v[20:21], 0  // 000000006404: D3F30030 0A022908
	v_mfma_f32_16x16x32_fp8_fp8 v[48:51], a[10:11], v[22:23], v[48:51]// 00000000640C: D3F30030 0CC22D0A
	v_mfma_f32_16x16x32_fp8_fp8 v[48:51], a[12:13], v[24:25], v[48:51]// 000000006414: D3F30030 0CC2310C
	buffer_load_dwordx4 a[52:55], v203, s[12:15], 0 offen offset:2048// 00000000641C: E05C1800 808334CB
	v_mfma_f32_16x16x32_fp8_fp8 v[48:51], a[14:15], v[26:27], v[48:51]// 000000006424: D3F30030 0CC2350E
	v_mfma_f32_16x16x32_fp8_fp8 v[52:55], a[16:17], v[20:21], 0// 00000000642C: D3F30034 0A022910
	v_mfma_f32_16x16x32_fp8_fp8 v[52:55], a[18:19], v[22:23], v[52:55]// 000000006434: D3F30034 0CD22D12
	v_mfma_f32_16x16x32_fp8_fp8 v[52:55], a[20:21], v[24:25], v[52:55]// 00000000643C: D3F30034 0CD23114
	buffer_load_dwordx4 a[56:59], v202, s[12:15], 0 offen offset:3072// 000000006444: E05C1C00 808338CA
	v_mfma_f32_16x16x32_fp8_fp8 v[52:55], a[22:23], v[26:27], v[52:55]// 00000000644C: D3F30034 0CD23516
	v_mfma_f32_16x16x32_fp8_fp8 v[56:59], a[24:25], v[20:21], 0// 000000006454: D3F30038 0A022918
	v_mfma_f32_16x16x32_fp8_fp8 v[56:59], a[26:27], v[22:23], v[56:59]// 00000000645C: D3F30038 0CE22D1A
	v_mfma_f32_16x16x32_fp8_fp8 v[56:59], a[28:29], v[24:25], v[56:59]// 000000006464: D3F30038 0CE2311C
	buffer_load_dwordx4 a[60:63], v203, s[12:15], 0 offen offset:3072// 00000000646C: E05C1C00 80833CCB
	v_mfma_f32_16x16x32_fp8_fp8 v[56:59], a[30:31], v[26:27], v[56:59]// 000000006474: D3F30038 0CE2351E
	s_waitcnt vmcnt(16)                                        // 00000000647C: BF8C4F70
	v_pk_mul_f32 v[28:29], v[124:125], v[28:29]                // 000000006480: D3B1401C 1802397C
	v_pk_mul_f32 v[30:31], v[124:125], v[30:31]                // 000000006488: D3B1401E 18023D7C
	v_mul_f32_dpp v28, v128, v28 row_newbcast:0 row_mask:0xf bank_mask:0xf// 000000006490: 0A3838FA FF015080
	v_mul_f32_dpp v29, v128, v29 row_newbcast:1 row_mask:0xf bank_mask:0xf// 000000006498: 0A3A3AFA FF015180
	v_mul_f32_dpp v30, v128, v30 row_newbcast:2 row_mask:0xf bank_mask:0xf// 0000000064A0: 0A3C3CFA FF015280
	v_mul_f32_dpp v31, v128, v31 row_newbcast:3 row_mask:0xf bank_mask:0xf// 0000000064A8: 0A3E3EFA FF015380
	v_pk_mul_f32 v[32:33], v[124:125], v[32:33]                // 0000000064B0: D3B14020 1802417C
	v_pk_mul_f32 v[34:35], v[124:125], v[34:35]                // 0000000064B8: D3B14022 1802457C
	v_mul_f32_dpp v32, v128, v32 row_newbcast:4 row_mask:0xf bank_mask:0xf// 0000000064C0: 0A4040FA FF015480
	v_mul_f32_dpp v33, v128, v33 row_newbcast:5 row_mask:0xf bank_mask:0xf// 0000000064C8: 0A4242FA FF015580
	v_mul_f32_dpp v34, v128, v34 row_newbcast:6 row_mask:0xf bank_mask:0xf// 0000000064D0: 0A4444FA FF015680
	v_mul_f32_dpp v35, v128, v35 row_newbcast:7 row_mask:0xf bank_mask:0xf// 0000000064D8: 0A4646FA FF015780
	v_pk_mul_f32 v[36:37], v[124:125], v[36:37]                // 0000000064E0: D3B14024 1802497C
	v_pk_mul_f32 v[38:39], v[124:125], v[38:39]                // 0000000064E8: D3B14026 18024D7C
	v_mul_f32_dpp v36, v128, v36 row_newbcast:8 row_mask:0xf bank_mask:0xf// 0000000064F0: 0A4848FA FF015880
	v_mul_f32_dpp v37, v128, v37 row_newbcast:9 row_mask:0xf bank_mask:0xf// 0000000064F8: 0A4A4AFA FF015980
	v_mul_f32_dpp v38, v128, v38 row_newbcast:10 row_mask:0xf bank_mask:0xf// 000000006500: 0A4C4CFA FF015A80
	v_mul_f32_dpp v39, v128, v39 row_newbcast:11 row_mask:0xf bank_mask:0xf// 000000006508: 0A4E4EFA FF015B80
	v_pk_mul_f32 v[40:41], v[124:125], v[40:41]                // 000000006510: D3B14028 1802517C
	v_pk_mul_f32 v[42:43], v[124:125], v[42:43]                // 000000006518: D3B1402A 1802557C
	v_mul_f32_dpp v40, v128, v40 row_newbcast:12 row_mask:0xf bank_mask:0xf// 000000006520: 0A5050FA FF015C80
	v_mul_f32_dpp v41, v128, v41 row_newbcast:13 row_mask:0xf bank_mask:0xf// 000000006528: 0A5252FA FF015D80
	v_mul_f32_dpp v42, v128, v42 row_newbcast:14 row_mask:0xf bank_mask:0xf// 000000006530: 0A5454FA FF015E80
	v_mul_f32_dpp v43, v128, v43 row_newbcast:15 row_mask:0xf bank_mask:0xf// 000000006538: 0A5656FA FF015F80
	v_pk_mul_f32 v[44:45], v[126:127], v[44:45]                // 000000006540: D3B1402C 1802597E
	v_pk_mul_f32 v[46:47], v[126:127], v[46:47]                // 000000006548: D3B1402E 18025D7E
	v_mul_f32_dpp v44, v128, v44 row_newbcast:0 row_mask:0xf bank_mask:0xf// 000000006550: 0A5858FA FF015080
	v_mul_f32_dpp v45, v128, v45 row_newbcast:1 row_mask:0xf bank_mask:0xf// 000000006558: 0A5A5AFA FF015180
	v_mul_f32_dpp v46, v128, v46 row_newbcast:2 row_mask:0xf bank_mask:0xf// 000000006560: 0A5C5CFA FF015280
	v_mul_f32_dpp v47, v128, v47 row_newbcast:3 row_mask:0xf bank_mask:0xf// 000000006568: 0A5E5EFA FF015380
	v_pk_mul_f32 v[48:49], v[126:127], v[48:49]                // 000000006570: D3B14030 1802617E
	v_pk_mul_f32 v[50:51], v[126:127], v[50:51]                // 000000006578: D3B14032 1802657E
	v_mul_f32_dpp v48, v128, v48 row_newbcast:4 row_mask:0xf bank_mask:0xf// 000000006580: 0A6060FA FF015480
	v_mul_f32_dpp v49, v128, v49 row_newbcast:5 row_mask:0xf bank_mask:0xf// 000000006588: 0A6262FA FF015580
	v_mul_f32_dpp v50, v128, v50 row_newbcast:6 row_mask:0xf bank_mask:0xf// 000000006590: 0A6464FA FF015680
	v_mul_f32_dpp v51, v128, v51 row_newbcast:7 row_mask:0xf bank_mask:0xf// 000000006598: 0A6666FA FF015780
	v_pk_mul_f32 v[52:53], v[126:127], v[52:53]                // 0000000065A0: D3B14034 1802697E
	v_pk_mul_f32 v[54:55], v[126:127], v[54:55]                // 0000000065A8: D3B14036 18026D7E
	v_mul_f32_dpp v52, v128, v52 row_newbcast:8 row_mask:0xf bank_mask:0xf// 0000000065B0: 0A6868FA FF015880
	v_mul_f32_dpp v53, v128, v53 row_newbcast:9 row_mask:0xf bank_mask:0xf// 0000000065B8: 0A6A6AFA FF015980
	v_mul_f32_dpp v54, v128, v54 row_newbcast:10 row_mask:0xf bank_mask:0xf// 0000000065C0: 0A6C6CFA FF015A80
	v_mul_f32_dpp v55, v128, v55 row_newbcast:11 row_mask:0xf bank_mask:0xf// 0000000065C8: 0A6E6EFA FF015B80
	v_pk_mul_f32 v[56:57], v[126:127], v[56:57]                // 0000000065D0: D3B14038 1802717E
	v_pk_mul_f32 v[58:59], v[126:127], v[58:59]                // 0000000065D8: D3B1403A 1802757E
	v_mul_f32_dpp v56, v128, v56 row_newbcast:12 row_mask:0xf bank_mask:0xf// 0000000065E0: 0A7070FA FF015C80
	v_mul_f32_dpp v57, v128, v57 row_newbcast:13 row_mask:0xf bank_mask:0xf// 0000000065E8: 0A7272FA FF015D80
	v_mul_f32_dpp v58, v128, v58 row_newbcast:14 row_mask:0xf bank_mask:0xf// 0000000065F0: 0A7474FA FF015E80
	v_mul_f32_dpp v59, v128, v59 row_newbcast:15 row_mask:0xf bank_mask:0xf// 0000000065F8: 0A7676FA FF015F80
	v_mov_b32_e32 v150, v28                                    // 000000006600: 7F2C031C
	v_max3_f32 v150, v28, v29, v150                            // 000000006604: D1D30096 065A3B1C
	v_max3_f32 v150, v30, v31, v150                            // 00000000660C: D1D30096 065A3F1E
	v_max3_f32 v150, v32, v33, v150                            // 000000006614: D1D30096 065A4320
	v_max3_f32 v150, v34, v35, v150                            // 00000000661C: D1D30096 065A4722
	v_max3_f32 v150, v36, v37, v150                            // 000000006624: D1D30096 065A4B24
	v_max3_f32 v150, v38, v39, v150                            // 00000000662C: D1D30096 065A4F26
	v_max3_f32 v150, v40, v41, v150                            // 000000006634: D1D30096 065A5328
	v_max3_f32 v150, v42, v43, v150                            // 00000000663C: D1D30096 065A572A
	v_mov_b32_e32 v151, v44                                    // 000000006644: 7F2E032C
	v_max3_f32 v151, v44, v45, v151                            // 000000006648: D1D30097 065E5B2C
	v_max3_f32 v151, v46, v47, v151                            // 000000006650: D1D30097 065E5F2E
	v_max3_f32 v151, v48, v49, v151                            // 000000006658: D1D30097 065E6330
	v_max3_f32 v151, v50, v51, v151                            // 000000006660: D1D30097 065E6732
	v_max3_f32 v151, v52, v53, v151                            // 000000006668: D1D30097 065E6B34
	v_max3_f32 v151, v54, v55, v151                            // 000000006670: D1D30097 065E6F36
	v_max3_f32 v151, v56, v57, v151                            // 000000006678: D1D30097 065E7338
	v_max3_f32 v151, v58, v59, v151                            // 000000006680: D1D30097 065E773A
	ds_write_b64 v220, v[150:151]                              // 000000006688: D89A0000 000096DC
	v_pk_mul_f32 v[108:109], v[142:143], v[108:109]            // 000000006690: D3B1406C 1802D98E
	v_pk_mul_f32 v[110:111], v[142:143], v[110:111]            // 000000006698: D3B1406E 1802DD8E
	v_pk_mul_f32 v[112:113], v[142:143], v[112:113]            // 0000000066A0: D3B14070 1802E18E
	v_pk_mul_f32 v[114:115], v[142:143], v[114:115]            // 0000000066A8: D3B14072 1802E58E
	v_pk_mul_f32 v[116:117], v[144:145], v[116:117]            // 0000000066B0: D3B14074 1802E990
	v_pk_mul_f32 v[118:119], v[144:145], v[118:119]            // 0000000066B8: D3B14076 1802ED90
	v_pk_mul_f32 v[120:121], v[144:145], v[120:121]            // 0000000066C0: D3B14078 1802F190
	v_pk_mul_f32 v[122:123], v[144:145], v[122:123]            // 0000000066C8: D3B1407A 1802F590
	s_waitcnt lgkmcnt(0)                                       // 0000000066D0: BF8CC07F
	s_barrier                                                  // 0000000066D4: BF8A0000
	v_pk_mul_f32 v[92:93], v[132:133], v[92:93]                // 0000000066D8: D3B1405C 1802B984
	v_pk_mul_f32 v[94:95], v[132:133], v[94:95]                // 0000000066E0: D3B1405E 1802BD84
	v_pk_mul_f32 v[96:97], v[132:133], v[96:97]                // 0000000066E8: D3B14060 1802C184
	v_pk_mul_f32 v[98:99], v[132:133], v[98:99]                // 0000000066F0: D3B14062 1802C584
	v_pk_mul_f32 v[100:101], v[134:135], v[100:101]            // 0000000066F8: D3B14064 1802C986
	v_pk_mul_f32 v[102:103], v[134:135], v[102:103]            // 000000006700: D3B14066 1802CD86
	v_pk_mul_f32 v[104:105], v[134:135], v[104:105]            // 000000006708: D3B14068 1802D186
	v_pk_mul_f32 v[106:107], v[134:135], v[106:107]            // 000000006710: D3B1406A 1802D586
	ds_read_b64 v[154:155], v221                               // 000000006718: D8EC0000 9A0000DD
	ds_read_b64 v[156:157], v221 offset:128                    // 000000006720: D8EC0080 9C0000DD
	ds_read_b64 v[158:159], v221 offset:256                    // 000000006728: D8EC0100 9E0000DD
	ds_read_b64 v[160:161], v221 offset:384                    // 000000006730: D8EC0180 A00000DD
	ds_read_b64 v[162:163], v221 offset:512                    // 000000006738: D8EC0200 A20000DD
	ds_read_b64 v[164:165], v221 offset:640                    // 000000006740: D8EC0280 A40000DD
	ds_read_b64 v[166:167], v221 offset:768                    // 000000006748: D8EC0300 A60000DD
	ds_read_b64 v[168:169], v221 offset:896                    // 000000006750: D8EC0380 A80000DD
	ds_read_b64 v[170:171], v221 offset:1024                   // 000000006758: D8EC0400 AA0000DD
	ds_read_b64 v[172:173], v221 offset:1152                   // 000000006760: D8EC0480 AC0000DD
	ds_read_b64 v[174:175], v221 offset:1280                   // 000000006768: D8EC0500 AE0000DD
	ds_read_b64 v[176:177], v221 offset:1408                   // 000000006770: D8EC0580 B00000DD
	ds_read_b64 v[178:179], v221 offset:1536                   // 000000006778: D8EC0600 B20000DD
	ds_read_b64 v[180:181], v221 offset:1664                   // 000000006780: D8EC0680 B40000DD
	ds_read_b64 v[182:183], v221 offset:1792                   // 000000006788: D8EC0700 B60000DD
	ds_read_b64 v[184:185], v221 offset:1920                   // 000000006790: D8EC0780 B80000DD
	s_waitcnt lgkmcnt(0)                                       // 000000006798: BF8CC07F
	v_max3_f32 v150, v154, v156, v150                          // 00000000679C: D1D30096 065B399A
	v_max3_f32 v151, v155, v157, v151                          // 0000000067A4: D1D30097 065F3B9B
	v_max3_f32 v150, v158, v160, v150                          // 0000000067AC: D1D30096 065B419E
	v_max3_f32 v151, v159, v161, v151                          // 0000000067B4: D1D30097 065F439F
	v_max3_f32 v150, v162, v164, v150                          // 0000000067BC: D1D30096 065B49A2
	v_max3_f32 v151, v163, v165, v151                          // 0000000067C4: D1D30097 065F4BA3
	v_max3_f32 v150, v166, v168, v150                          // 0000000067CC: D1D30096 065B51A6
	v_max3_f32 v151, v167, v169, v151                          // 0000000067D4: D1D30097 065F53A7
	v_max3_f32 v150, v170, v172, v150                          // 0000000067DC: D1D30096 065B59AA
	v_max3_f32 v151, v171, v173, v151                          // 0000000067E4: D1D30097 065F5BAB
	v_max3_f32 v150, v174, v176, v150                          // 0000000067EC: D1D30096 065B61AE
	v_max3_f32 v151, v175, v177, v151                          // 0000000067F4: D1D30097 065F63AF
	v_max3_f32 v150, v178, v180, v150                          // 0000000067FC: D1D30096 065B69B2
	v_max3_f32 v151, v179, v181, v151                          // 000000006804: D1D30097 065F6BB3
	v_max3_f32 v150, v182, v184, v150                          // 00000000680C: D1D30096 065B71B6
	v_max3_f32 v151, v183, v185, v151                          // 000000006814: D1D30097 065F73B7
	v_max_f32_e32 v140, v150, v138                             // 00000000681C: 17191596
	v_mul_f32_e64 v186, -s46, v140                             // 000000006820: D10500BA 2003182E
	v_mov_b32_e32 v187, v186                                   // 000000006828: 7F7603BA
	v_pk_fma_f32 v[28:29], v[28:29], s[46:47], v[186:187]      // 00000000682C: D3B0401C 1EE85D1C
	v_pk_fma_f32 v[30:31], v[30:31], s[46:47], v[186:187]      // 000000006834: D3B0401E 1EE85D1E
	v_exp_f32_e32 v28, v28                                     // 00000000683C: 7E38411C
	v_exp_f32_e32 v29, v29                                     // 000000006840: 7E3A411D
	v_exp_f32_e32 v30, v30                                     // 000000006844: 7E3C411E
	v_exp_f32_e32 v31, v31                                     // 000000006848: 7E3E411F
	v_pk_fma_f32 v[32:33], v[32:33], s[46:47], v[186:187]      // 00000000684C: D3B04020 1EE85D20
	v_pk_fma_f32 v[34:35], v[34:35], s[46:47], v[186:187]      // 000000006854: D3B04022 1EE85D22
	v_exp_f32_e32 v32, v32                                     // 00000000685C: 7E404120
	v_exp_f32_e32 v33, v33                                     // 000000006860: 7E424121
	v_exp_f32_e32 v34, v34                                     // 000000006864: 7E444122
	v_exp_f32_e32 v35, v35                                     // 000000006868: 7E464123
	v_pk_fma_f32 v[36:37], v[36:37], s[46:47], v[186:187]      // 00000000686C: D3B04024 1EE85D24
	v_pk_fma_f32 v[38:39], v[38:39], s[46:47], v[186:187]      // 000000006874: D3B04026 1EE85D26
	v_exp_f32_e32 v36, v36                                     // 00000000687C: 7E484124
	v_exp_f32_e32 v37, v37                                     // 000000006880: 7E4A4125
	v_exp_f32_e32 v38, v38                                     // 000000006884: 7E4C4126
	v_exp_f32_e32 v39, v39                                     // 000000006888: 7E4E4127
	v_pk_fma_f32 v[40:41], v[40:41], s[46:47], v[186:187]      // 00000000688C: D3B04028 1EE85D28
	v_pk_fma_f32 v[42:43], v[42:43], s[46:47], v[186:187]      // 000000006894: D3B0402A 1EE85D2A
	v_exp_f32_e32 v40, v40                                     // 00000000689C: 7E504128
	v_exp_f32_e32 v41, v41                                     // 0000000068A0: 7E524129
	v_exp_f32_e32 v42, v42                                     // 0000000068A4: 7E54412A
	v_exp_f32_e32 v43, v43                                     // 0000000068A8: 7E56412B
	v_max_f32_e32 v141, v151, v139                             // 0000000068AC: 171B1797
	v_mul_f32_e64 v186, -s46, v141                             // 0000000068B0: D10500BA 20031A2E
	v_mov_b32_e32 v187, v186                                   // 0000000068B8: 7F7603BA
	v_pk_fma_f32 v[44:45], v[44:45], s[46:47], v[186:187]      // 0000000068BC: D3B0402C 1EE85D2C
	v_pk_fma_f32 v[46:47], v[46:47], s[46:47], v[186:187]      // 0000000068C4: D3B0402E 1EE85D2E
	v_exp_f32_e32 v44, v44                                     // 0000000068CC: 7E58412C
	v_exp_f32_e32 v45, v45                                     // 0000000068D0: 7E5A412D
	v_exp_f32_e32 v46, v46                                     // 0000000068D4: 7E5C412E
	v_exp_f32_e32 v47, v47                                     // 0000000068D8: 7E5E412F
	v_pk_fma_f32 v[48:49], v[48:49], s[46:47], v[186:187]      // 0000000068DC: D3B04030 1EE85D30
	v_pk_fma_f32 v[50:51], v[50:51], s[46:47], v[186:187]      // 0000000068E4: D3B04032 1EE85D32
	v_exp_f32_e32 v48, v48                                     // 0000000068EC: 7E604130
	v_exp_f32_e32 v49, v49                                     // 0000000068F0: 7E624131
	v_exp_f32_e32 v50, v50                                     // 0000000068F4: 7E644132
	v_exp_f32_e32 v51, v51                                     // 0000000068F8: 7E664133
	v_pk_fma_f32 v[52:53], v[52:53], s[46:47], v[186:187]      // 0000000068FC: D3B04034 1EE85D34
	v_pk_fma_f32 v[54:55], v[54:55], s[46:47], v[186:187]      // 000000006904: D3B04036 1EE85D36
	v_exp_f32_e32 v52, v52                                     // 00000000690C: 7E684134
	v_exp_f32_e32 v53, v53                                     // 000000006910: 7E6A4135
	v_exp_f32_e32 v54, v54                                     // 000000006914: 7E6C4136
	v_exp_f32_e32 v55, v55                                     // 000000006918: 7E6E4137
	v_pk_fma_f32 v[56:57], v[56:57], s[46:47], v[186:187]      // 00000000691C: D3B04038 1EE85D38
	v_pk_fma_f32 v[58:59], v[58:59], s[46:47], v[186:187]      // 000000006924: D3B0403A 1EE85D3A
	v_exp_f32_e32 v56, v56                                     // 00000000692C: 7E704138
	v_exp_f32_e32 v57, v57                                     // 000000006930: 7E724139
	v_exp_f32_e32 v58, v58                                     // 000000006934: 7E74413A
	v_exp_f32_e32 v59, v59                                     // 000000006938: 7E76413B
	v_mul_f32_dpp v60, v130, v28 row_newbcast:0 row_mask:0xf bank_mask:0xf// 00000000693C: 0A7838FA FF015082
	v_mul_f32_dpp v61, v130, v29 row_newbcast:1 row_mask:0xf bank_mask:0xf// 000000006944: 0A7A3AFA FF015182
	v_mul_f32_dpp v62, v130, v30 row_newbcast:2 row_mask:0xf bank_mask:0xf// 00000000694C: 0A7C3CFA FF015282
	v_mul_f32_dpp v63, v130, v31 row_newbcast:3 row_mask:0xf bank_mask:0xf// 000000006954: 0A7E3EFA FF015382
	v_mul_f32_dpp v64, v130, v32 row_newbcast:4 row_mask:0xf bank_mask:0xf// 00000000695C: 0A8040FA FF015482
	v_mul_f32_dpp v65, v130, v33 row_newbcast:5 row_mask:0xf bank_mask:0xf// 000000006964: 0A8242FA FF015582
	v_mul_f32_dpp v66, v130, v34 row_newbcast:6 row_mask:0xf bank_mask:0xf// 00000000696C: 0A8444FA FF015682
	v_mul_f32_dpp v67, v130, v35 row_newbcast:7 row_mask:0xf bank_mask:0xf// 000000006974: 0A8646FA FF015782
	v_mul_f32_dpp v68, v130, v36 row_newbcast:8 row_mask:0xf bank_mask:0xf// 00000000697C: 0A8848FA FF015882
	v_mul_f32_dpp v69, v130, v37 row_newbcast:9 row_mask:0xf bank_mask:0xf// 000000006984: 0A8A4AFA FF015982
	v_mul_f32_dpp v70, v130, v38 row_newbcast:10 row_mask:0xf bank_mask:0xf// 00000000698C: 0A8C4CFA FF015A82
	v_mul_f32_dpp v71, v130, v39 row_newbcast:11 row_mask:0xf bank_mask:0xf// 000000006994: 0A8E4EFA FF015B82
	v_mul_f32_dpp v72, v130, v40 row_newbcast:12 row_mask:0xf bank_mask:0xf// 00000000699C: 0A9050FA FF015C82
	v_mul_f32_dpp v73, v130, v41 row_newbcast:13 row_mask:0xf bank_mask:0xf// 0000000069A4: 0A9252FA FF015D82
	v_mul_f32_dpp v74, v130, v42 row_newbcast:14 row_mask:0xf bank_mask:0xf// 0000000069AC: 0A9454FA FF015E82
	v_mul_f32_dpp v75, v130, v43 row_newbcast:15 row_mask:0xf bank_mask:0xf// 0000000069B4: 0A9656FA FF015F82
	v_mul_f32_dpp v76, v130, v44 row_newbcast:0 row_mask:0xf bank_mask:0xf// 0000000069BC: 0A9858FA FF015082
	v_mul_f32_dpp v77, v130, v45 row_newbcast:1 row_mask:0xf bank_mask:0xf// 0000000069C4: 0A9A5AFA FF015182
	v_mul_f32_dpp v78, v130, v46 row_newbcast:2 row_mask:0xf bank_mask:0xf// 0000000069CC: 0A9C5CFA FF015282
	v_mul_f32_dpp v79, v130, v47 row_newbcast:3 row_mask:0xf bank_mask:0xf// 0000000069D4: 0A9E5EFA FF015382
	v_mul_f32_dpp v80, v130, v48 row_newbcast:4 row_mask:0xf bank_mask:0xf// 0000000069DC: 0AA060FA FF015482
	v_mul_f32_dpp v81, v130, v49 row_newbcast:5 row_mask:0xf bank_mask:0xf// 0000000069E4: 0AA262FA FF015582
	v_mul_f32_dpp v82, v130, v50 row_newbcast:6 row_mask:0xf bank_mask:0xf// 0000000069EC: 0AA464FA FF015682
	v_mul_f32_dpp v83, v130, v51 row_newbcast:7 row_mask:0xf bank_mask:0xf// 0000000069F4: 0AA666FA FF015782
	v_mul_f32_dpp v84, v130, v52 row_newbcast:8 row_mask:0xf bank_mask:0xf// 0000000069FC: 0AA868FA FF015882
	v_mul_f32_dpp v85, v130, v53 row_newbcast:9 row_mask:0xf bank_mask:0xf// 000000006A04: 0AAA6AFA FF015982
	v_mul_f32_dpp v86, v130, v54 row_newbcast:10 row_mask:0xf bank_mask:0xf// 000000006A0C: 0AAC6CFA FF015A82
	v_mul_f32_dpp v87, v130, v55 row_newbcast:11 row_mask:0xf bank_mask:0xf// 000000006A14: 0AAE6EFA FF015B82
	v_mul_f32_dpp v88, v130, v56 row_newbcast:12 row_mask:0xf bank_mask:0xf// 000000006A1C: 0AB070FA FF015C82
	v_mul_f32_dpp v89, v130, v57 row_newbcast:13 row_mask:0xf bank_mask:0xf// 000000006A24: 0AB272FA FF015D82
	v_mul_f32_dpp v90, v130, v58 row_newbcast:14 row_mask:0xf bank_mask:0xf// 000000006A2C: 0AB474FA FF015E82
	v_mul_f32_dpp v91, v130, v59 row_newbcast:15 row_mask:0xf bank_mask:0xf// 000000006A34: 0AB676FA FF015F82
	buffer_load_dword v129, v208, s[20:23], 0 offen            // 000000006A3C: E0501000 800581D0
	v_sub_f32_e32 v142, v138, v140                             // 000000006A44: 051D198A
	v_cmp_eq_u32_e64 s[98:99], v197, v138                      // 000000006A48: D0CA0062 000315C5
	v_cndmask_b32_e64 v142, v142, 0, s[98:99]                  // 000000006A50: D100008E 0189018E
	v_mov_b32_e32 v138, v140                                   // 000000006A58: 7F14038C
	v_mul_f32_e32 v142, s46, v142                              // 000000006A5C: 0B1D1C2E
	v_exp_f32_e32 v142, v142                                   // 000000006A60: 7F1C418E
	v_sub_f32_e32 v144, v139, v141                             // 000000006A64: 05211B8B
	v_cmp_eq_u32_e64 s[98:99], v197, v139                      // 000000006A68: D0CA0062 000317C5
	v_cndmask_b32_e64 v144, v144, 0, s[98:99]                  // 000000006A70: D1000090 01890190
	v_mov_b32_e32 v139, v141                                   // 000000006A78: 7F16038D
	v_mul_f32_e32 v144, s46, v144                              // 000000006A7C: 0B21202E
	v_exp_f32_e32 v144, v144                                   // 000000006A80: 7F204190
	v_mov_b32_e32 v143, v142                                   // 000000006A84: 7F1E038E
	v_mov_b32_e32 v145, v144                                   // 000000006A88: 7F220390
	buffer_load_dword v131, v209, s[24:27], 0 offen            // 000000006A8C: E0501000 800683D1
	s_waitcnt lgkmcnt(0)                                       // 000000006A94: BF8CC07F
	s_barrier                                                  // 000000006A98: BF8A0000
	v_mul_f32_e32 v146, v142, v146                             // 000000006A9C: 0B25258E
	v_mov_b32_e32 v147, 0                                      // 000000006AA0: 7F260280
	v_pk_add_f32 v[146:147], v[28:29], v[146:147]              // 000000006AA4: D3B24092 1803251C
	v_pk_add_f32 v[146:147], v[30:31], v[146:147]              // 000000006AAC: D3B24092 1803251E
	v_pk_add_f32 v[146:147], v[32:33], v[146:147]              // 000000006AB4: D3B24092 18032520
	v_pk_add_f32 v[146:147], v[34:35], v[146:147]              // 000000006ABC: D3B24092 18032522
	v_pk_add_f32 v[146:147], v[36:37], v[146:147]              // 000000006AC4: D3B24092 18032524
	v_pk_add_f32 v[146:147], v[38:39], v[146:147]              // 000000006ACC: D3B24092 18032526
	v_pk_add_f32 v[146:147], v[40:41], v[146:147]              // 000000006AD4: D3B24092 18032528
	v_pk_add_f32 v[146:147], v[42:43], v[146:147]              // 000000006ADC: D3B24092 1803252A
	v_add_f32_e32 v146, v147, v146                             // 000000006AE4: 03252593
	v_mul_f32_e32 v148, v144, v148                             // 000000006AE8: 0B292990
	v_mov_b32_e32 v149, 0                                      // 000000006AEC: 7F2A0280
	v_pk_add_f32 v[148:149], v[44:45], v[148:149]              // 000000006AF0: D3B24094 1803292C
	v_pk_add_f32 v[148:149], v[46:47], v[148:149]              // 000000006AF8: D3B24094 1803292E
	v_pk_add_f32 v[148:149], v[48:49], v[148:149]              // 000000006B00: D3B24094 18032930
	v_pk_add_f32 v[148:149], v[50:51], v[148:149]              // 000000006B08: D3B24094 18032932
	v_pk_add_f32 v[148:149], v[52:53], v[148:149]              // 000000006B10: D3B24094 18032934
	v_pk_add_f32 v[148:149], v[54:55], v[148:149]              // 000000006B18: D3B24094 18032936
	v_pk_add_f32 v[148:149], v[56:57], v[148:149]              // 000000006B20: D3B24094 18032938
	v_pk_add_f32 v[148:149], v[58:59], v[148:149]              // 000000006B28: D3B24094 1803293A
	v_add_f32_e32 v148, v149, v148                             // 000000006B30: 03292995
	s_waitcnt lgkmcnt(0)                                       // 000000006B34: BF8CC07F
	v_sub_f32_e32 v150, v150, v138                             // 000000006B38: 052D1596
	v_sub_f32_e32 v151, v151, v139                             // 000000006B3C: 052F1797
	v_mul_f32_e32 v150, s46, v150                              // 000000006B40: 0B2D2C2E
	v_mul_f32_e32 v151, s46, v151                              // 000000006B44: 0B2F2E2E
	v_exp_f32_e32 v150, v150                                   // 000000006B48: 7F2C4196
	v_exp_f32_e32 v151, v151                                   // 000000006B4C: 7F2E4197
	v_mul_f32_e32 v150, v130, v150                             // 000000006B50: 0B2D2D82
	v_mul_f32_e32 v151, v130, v151                             // 000000006B54: 0B2F2F82
	v_add_f32_e32 v150, 0x3089705f, v150                       // 000000006B58: 032D2CFF 3089705F
	v_add_f32_e32 v151, 0x3089705f, v151                       // 000000006B60: 032F2EFF 3089705F
	v_rcp_f32_e32 v150, v150                                   // 000000006B68: 7F2C4596
	v_rcp_f32_e32 v151, v151                                   // 000000006B6C: 7F2E4597
	v_mul_f32_e32 v150, 0x43700000, v150                       // 000000006B70: 0B2D2CFF 43700000
	v_mul_f32_e32 v151, 0x43700000, v151                       // 000000006B78: 0B2F2EFF 43700000
	v_mov_b32_e32 v152, v151                                   // 000000006B80: 7F300397
	v_mov_b32_e32 v153, v151                                   // 000000006B84: 7F320397
	v_mov_b32_e32 v151, v150                                   // 000000006B88: 7F2E0396
	v_pk_mul_f32 v[28:29], v[150:151], v[60:61]                // 000000006B8C: D3B1401C 18027996
	v_pk_mul_f32 v[30:31], v[150:151], v[62:63]                // 000000006B94: D3B1401E 18027D96
	v_pk_mul_f32 v[32:33], v[150:151], v[64:65]                // 000000006B9C: D3B14020 18028196
	v_pk_mul_f32 v[34:35], v[150:151], v[66:67]                // 000000006BA4: D3B14022 18028596
	v_pk_mul_f32 v[36:37], v[150:151], v[68:69]                // 000000006BAC: D3B14024 18028996
	v_pk_mul_f32 v[38:39], v[150:151], v[70:71]                // 000000006BB4: D3B14026 18028D96
	v_pk_mul_f32 v[40:41], v[150:151], v[72:73]                // 000000006BBC: D3B14028 18029196
	v_pk_mul_f32 v[42:43], v[150:151], v[74:75]                // 000000006BC4: D3B1402A 18029596
	v_pk_mul_f32 v[44:45], v[152:153], v[76:77]                // 000000006BCC: D3B1402C 18029998
	v_pk_mul_f32 v[46:47], v[152:153], v[78:79]                // 000000006BD4: D3B1402E 18029D98
	v_pk_mul_f32 v[48:49], v[152:153], v[80:81]                // 000000006BDC: D3B14030 1802A198
	v_pk_mul_f32 v[50:51], v[152:153], v[82:83]                // 000000006BE4: D3B14032 1802A598
	v_pk_mul_f32 v[52:53], v[152:153], v[84:85]                // 000000006BEC: D3B14034 1802A998
	v_pk_mul_f32 v[54:55], v[152:153], v[86:87]                // 000000006BF4: D3B14036 1802AD98
	v_pk_mul_f32 v[56:57], v[152:153], v[88:89]                // 000000006BFC: D3B14038 1802B198
	v_pk_mul_f32 v[58:59], v[152:153], v[90:91]                // 000000006C04: D3B1403A 1802B598
	v_cvt_pk_fp8_f32 v28, v28, v29                             // 000000006C0C: D2A2001C 00023B1C
	v_cvt_pk_fp8_f32 v28, v30, v31 op_sel:[0,0,1]              // 000000006C14: D2A2401C 00023F1E
	v_cvt_pk_fp8_f32 v29, v32, v33                             // 000000006C1C: D2A2001D 00024320
	v_cvt_pk_fp8_f32 v29, v34, v35 op_sel:[0,0,1]              // 000000006C24: D2A2401D 00024722
	v_cvt_pk_fp8_f32 v30, v36, v37                             // 000000006C2C: D2A2001E 00024B24
	v_cvt_pk_fp8_f32 v30, v38, v39 op_sel:[0,0,1]              // 000000006C34: D2A2401E 00024F26
	v_cvt_pk_fp8_f32 v31, v40, v41                             // 000000006C3C: D2A2001F 00025328
	v_cvt_pk_fp8_f32 v31, v42, v43 op_sel:[0,0,1]              // 000000006C44: D2A2401F 0002572A
	v_cvt_pk_fp8_f32 v32, v44, v45                             // 000000006C4C: D2A20020 00025B2C
	v_cvt_pk_fp8_f32 v32, v46, v47 op_sel:[0,0,1]              // 000000006C54: D2A24020 00025F2E
	v_cvt_pk_fp8_f32 v33, v48, v49                             // 000000006C5C: D2A20021 00026330
	v_cvt_pk_fp8_f32 v33, v50, v51 op_sel:[0,0,1]              // 000000006C64: D2A24021 00026732
	v_cvt_pk_fp8_f32 v34, v52, v53                             // 000000006C6C: D2A20022 00026B34
	v_cvt_pk_fp8_f32 v34, v54, v55 op_sel:[0,0,1]              // 000000006C74: D2A24022 00026F36
	v_cvt_pk_fp8_f32 v35, v56, v57                             // 000000006C7C: D2A20023 00027338
	v_cvt_pk_fp8_f32 v35, v58, v59 op_sel:[0,0,1]              // 000000006C84: D2A24023 0002773A
	ds_write_b32 v222, v28 offset:4608                         // 000000006C8C: D81A1200 00001CDE
	ds_write_b32 v222, v29 offset:5632                         // 000000006C94: D81A1600 00001DDE
	ds_write_b32 v222, v30 offset:6656                         // 000000006C9C: D81A1A00 00001EDE
	ds_write_b32 v222, v31 offset:7680                         // 000000006CA4: D81A1E00 00001FDE
	ds_write_b32 v222, v32 offset:8704                         // 000000006CAC: D81A2200 000020DE
	ds_write_b32 v222, v33 offset:9728                         // 000000006CB4: D81A2600 000021DE
	ds_write_b32 v222, v34 offset:10752                        // 000000006CBC: D81A2A00 000022DE
	ds_write_b32 v222, v35 offset:11776                        // 000000006CC4: D81A2E00 000023DE
	v_rcp_f32_e32 v132, v150                                   // 000000006CCC: 7F084596
	v_rcp_f32_e32 v134, v152                                   // 000000006CD0: 7F0C4598
	v_mov_b32_e32 v133, v132                                   // 000000006CD4: 7F0A0384
	v_mov_b32_e32 v135, v134                                   // 000000006CD8: 7F0E0386
	v_pk_add_f32 v[108:109], v[108:109], v[92:93]              // 000000006CDC: D3B2406C 1802B96C
	v_pk_add_f32 v[110:111], v[110:111], v[94:95]              // 000000006CE4: D3B2406E 1802BD6E
	v_pk_add_f32 v[112:113], v[112:113], v[96:97]              // 000000006CEC: D3B24070 1802C170
	v_pk_add_f32 v[114:115], v[114:115], v[98:99]              // 000000006CF4: D3B24072 1802C572
	v_pk_add_f32 v[116:117], v[116:117], v[100:101]            // 000000006CFC: D3B24074 1802C974
	v_pk_add_f32 v[118:119], v[118:119], v[102:103]            // 000000006D04: D3B24076 1802CD76
	v_pk_add_f32 v[120:121], v[120:121], v[104:105]            // 000000006D0C: D3B24078 1802D178
	v_pk_add_f32 v[122:123], v[122:123], v[106:107]            // 000000006D14: D3B2407A 1802D57A
	s_waitcnt lgkmcnt(0)                                       // 000000006D1C: BF8CC07F
	s_barrier                                                  // 000000006D20: BF8A0000
	ds_read_b128 v[28:31], v223 offset:4608                    // 000000006D24: D9FE1200 1C0000DF
	ds_read_b128 v[32:35], v223 offset:5632                    // 000000006D2C: D9FE1600 200000DF
	ds_read_b128 v[36:39], v223 offset:6656                    // 000000006D34: D9FE1A00 240000DF
	ds_read_b128 v[40:43], v223 offset:7680                    // 000000006D3C: D9FE1E00 280000DF
	ds_read_b128 v[44:47], v223 offset:8704                    // 000000006D44: D9FE2200 2C0000DF
	ds_read_b128 v[48:51], v223 offset:9728                    // 000000006D4C: D9FE2600 300000DF
	ds_read_b128 v[52:55], v223 offset:10752                   // 000000006D54: D9FE2A00 340000DF
	ds_read_b128 v[56:59], v223 offset:11776                   // 000000006D5C: D9FE2E00 380000DF
	s_waitcnt vmcnt(10)                                        // 000000006D64: BF8C0F7A
	s_waitcnt lgkmcnt(7)                                       // 000000006D68: BF8CC77F
	v_mfma_f32_16x16x32_fp8_fp8 v[92:95], a[64:65], v[28:29], 0// 000000006D6C: D3F3005C 0A023940
	s_lshl_b32 s68, s76, 2                                     // 000000006D74: 8E44824C
	v_mfma_f32_16x16x32_fp8_fp8 v[96:99], a[80:81], v[28:29], 0// 000000006D78: D3F30060 0A023950
	s_cmp_lt_u32 s76, s77                                      // 000000006D80: BF0A4D4C
	s_cselect_b32 s68, s68, 0                                  // 000000006D84: 85448044
	v_mfma_f32_16x16x32_fp8_fp8 v[92:95], a[66:67], v[30:31], v[92:95]// 000000006D88: D3F3005C 0D723D42
	buffer_load_dwordx4 a[96:99], v204, s[16:19], 0 offen      // 000000006D90: E05C1000 808460CC
	v_mfma_f32_16x16x32_fp8_fp8 v[96:99], a[82:83], v[30:31], v[96:99]// 000000006D98: D3F30060 0D823D52
	s_addk_i32 s76, 0x1                                        // 000000006DA0: B74C0001
	s_waitcnt lgkmcnt(6)                                       // 000000006DA4: BF8CC67F
	v_mfma_f32_16x16x32_fp8_fp8 v[92:95], a[68:69], v[32:33], v[92:95]// 000000006DA8: D3F3005C 0D724144
	v_mfma_f32_16x16x32_fp8_fp8 v[96:99], a[84:85], v[32:33], v[96:99]// 000000006DB0: D3F30060 0D824154
	v_mfma_f32_16x16x32_fp8_fp8 v[92:95], a[70:71], v[34:35], v[92:95]// 000000006DB8: D3F3005C 0D724546
	buffer_load_dwordx4 a[100:103], v205, s[16:19], 0 offen    // 000000006DC0: E05C1000 808464CD
	v_mfma_f32_16x16x32_fp8_fp8 v[96:99], a[86:87], v[34:35], v[96:99]// 000000006DC8: D3F30060 0D824556
	s_waitcnt lgkmcnt(5)                                       // 000000006DD0: BF8CC57F
	v_mfma_f32_16x16x32_fp8_fp8 v[92:95], a[72:73], v[36:37], v[92:95]// 000000006DD4: D3F3005C 0D724948
	v_mfma_f32_16x16x32_fp8_fp8 v[96:99], a[88:89], v[36:37], v[96:99]// 000000006DDC: D3F30060 0D824958
	v_mfma_f32_16x16x32_fp8_fp8 v[92:95], a[74:75], v[38:39], v[92:95]// 000000006DE4: D3F3005C 0D724D4A
	buffer_load_dwordx4 a[104:107], v206, s[16:19], 0 offen    // 000000006DEC: E05C1000 808468CE
	v_mfma_f32_16x16x32_fp8_fp8 v[96:99], a[90:91], v[38:39], v[96:99]// 000000006DF4: D3F30060 0D824D5A
	s_waitcnt lgkmcnt(4)                                       // 000000006DFC: BF8CC47F
	v_mfma_f32_16x16x32_fp8_fp8 v[92:95], a[76:77], v[40:41], v[92:95]// 000000006E00: D3F3005C 0D72514C
	v_mfma_f32_16x16x32_fp8_fp8 v[96:99], a[92:93], v[40:41], v[96:99]// 000000006E08: D3F30060 0D82515C
	v_mfma_f32_16x16x32_fp8_fp8 v[92:95], a[78:79], v[42:43], v[92:95]// 000000006E10: D3F3005C 0D72554E
	buffer_load_dwordx4 a[108:111], v207, s[16:19], 0 offen    // 000000006E18: E05C1000 80846CCF
	v_mfma_f32_16x16x32_fp8_fp8 v[96:99], a[94:95], v[42:43], v[96:99]// 000000006E20: D3F30060 0D82555E
	s_waitcnt lgkmcnt(3)                                       // 000000006E28: BF8CC37F
	v_mfma_f32_16x16x32_fp8_fp8 v[100:103], a[64:65], v[44:45], 0// 000000006E2C: D3F30064 0A025940
	v_mfma_f32_16x16x32_fp8_fp8 v[104:107], a[80:81], v[44:45], 0// 000000006E34: D3F30068 0A025950
	v_mfma_f32_16x16x32_fp8_fp8 v[100:103], a[66:67], v[46:47], v[100:103]// 000000006E3C: D3F30064 0D925D42
	buffer_load_dwordx4 a[112:115], v204, s[16:19], 0 offen offset:1024// 000000006E44: E05C1400 808470CC
	v_mfma_f32_16x16x32_fp8_fp8 v[104:107], a[82:83], v[46:47], v[104:107]// 000000006E4C: D3F30068 0DA25D52
	s_waitcnt lgkmcnt(2)                                       // 000000006E54: BF8CC27F
	v_mfma_f32_16x16x32_fp8_fp8 v[100:103], a[68:69], v[48:49], v[100:103]// 000000006E58: D3F30064 0D926144
	v_mfma_f32_16x16x32_fp8_fp8 v[104:107], a[84:85], v[48:49], v[104:107]// 000000006E60: D3F30068 0DA26154
	v_mfma_f32_16x16x32_fp8_fp8 v[100:103], a[70:71], v[50:51], v[100:103]// 000000006E68: D3F30064 0D926546
	buffer_load_dwordx4 a[116:119], v205, s[16:19], 0 offen offset:1024// 000000006E70: E05C1400 808474CD
	v_mfma_f32_16x16x32_fp8_fp8 v[104:107], a[86:87], v[50:51], v[104:107]// 000000006E78: D3F30068 0DA26556
	s_waitcnt lgkmcnt(1)                                       // 000000006E80: BF8CC17F
	v_mfma_f32_16x16x32_fp8_fp8 v[100:103], a[72:73], v[52:53], v[100:103]// 000000006E84: D3F30064 0D926948
	v_mfma_f32_16x16x32_fp8_fp8 v[104:107], a[88:89], v[52:53], v[104:107]// 000000006E8C: D3F30068 0DA26958
	v_mfma_f32_16x16x32_fp8_fp8 v[100:103], a[74:75], v[54:55], v[100:103]// 000000006E94: D3F30064 0D926D4A
	buffer_load_dwordx4 a[120:123], v206, s[16:19], 0 offen offset:1024// 000000006E9C: E05C1400 808478CE
	v_mfma_f32_16x16x32_fp8_fp8 v[104:107], a[90:91], v[54:55], v[104:107]// 000000006EA4: D3F30068 0DA26D5A
	s_waitcnt lgkmcnt(0)                                       // 000000006EAC: BF8CC07F
	v_mfma_f32_16x16x32_fp8_fp8 v[100:103], a[76:77], v[56:57], v[100:103]// 000000006EB0: D3F30064 0D92714C
	v_mfma_f32_16x16x32_fp8_fp8 v[104:107], a[92:93], v[56:57], v[104:107]// 000000006EB8: D3F30068 0DA2715C
	v_mfma_f32_16x16x32_fp8_fp8 v[100:103], a[78:79], v[58:59], v[100:103]// 000000006EC0: D3F30064 0D92754E
	buffer_load_dwordx4 a[124:127], v207, s[16:19], 0 offen offset:1024// 000000006EC8: E05C1400 80847CCF
	v_mfma_f32_16x16x32_fp8_fp8 v[104:107], a[94:95], v[58:59], v[104:107]// 000000006ED0: D3F30068 0DA2755E
	s_load_dword s59, s[42:43], s68                            // 000000006ED8: C0000ED5 00000044
	s_addk_i32 s64, 0x100                                      // 000000006EE0: B7400100
	s_cmp_lt_i32 s64, s63                                      // 000000006EE4: BF043F40
	s_cbranch_scc0 label_20A3                                  // 000000006EE8: BF840E68
	s_waitcnt vmcnt(10)                                        // 000000006EEC: BF8C0F7A
	v_mfma_f32_16x16x32_fp8_fp8 v[28:31], a[32:33], v[12:13], 0// 000000006EF0: D3F3001C 0A021920
	s_add_u32 s12, s86, s69                                    // 000000006EF8: 800C4556
	s_addc_u32 s13, s87, 0                                     // 000000006EFC: 820D8057
	v_mfma_f32_16x16x32_fp8_fp8 v[28:31], a[34:35], v[14:15], v[28:31]// 000000006F00: D3F3001C 0C721D22
	s_add_u32 s16, s88, s70                                    // 000000006F08: 80104658
	s_addc_u32 s17, s89, 0                                     // 000000006F0C: 82118059
	v_mfma_f32_16x16x32_fp8_fp8 v[28:31], a[36:37], v[16:17], v[28:31]// 000000006F10: D3F3001C 0C722124
	buffer_load_dwordx4 a[0:3], v202, s[12:15], 0 offen        // 000000006F18: E05C1000 808300CA
	v_mfma_f32_16x16x32_fp8_fp8 v[28:31], a[38:39], v[18:19], v[28:31]// 000000006F20: D3F3001C 0C722526
	s_add_u32 s20, s90, s71                                    // 000000006F28: 8014475A
	s_addc_u32 s21, s91, 0                                     // 000000006F2C: 8215805B
	v_mfma_f32_16x16x32_fp8_fp8 v[32:35], a[40:41], v[12:13], 0// 000000006F30: D3F30020 0A021928
	s_add_u32 s24, s92, s71                                    // 000000006F38: 8018475C
	s_addc_u32 s25, s93, 0                                     // 000000006F3C: 8219805D
	v_mfma_f32_16x16x32_fp8_fp8 v[32:35], a[42:43], v[14:15], v[32:35]// 000000006F40: D3F30020 0C821D2A
	s_add_u32 s69, s69, 0x1000                                 // 000000006F48: 8045FF45 00001000
	s_add_u32 s70, s70, 0x8000                                 // 000000006F50: 8046FF46 00008000
	v_mfma_f32_16x16x32_fp8_fp8 v[32:35], a[44:45], v[16:17], v[32:35]// 000000006F58: D3F30020 0C82212C
	buffer_load_dwordx4 a[4:7], v203, s[12:15], 0 offen        // 000000006F60: E05C1000 808304CB
	v_mfma_f32_16x16x32_fp8_fp8 v[32:35], a[46:47], v[18:19], v[32:35]// 000000006F68: D3F30020 0C82252E
	v_mfma_f32_16x16x32_fp8_fp8 v[36:39], a[48:49], v[12:13], 0// 000000006F70: D3F30024 0A021930
	v_mfma_f32_16x16x32_fp8_fp8 v[36:39], a[50:51], v[14:15], v[36:39]// 000000006F78: D3F30024 0C921D32
	v_mfma_f32_16x16x32_fp8_fp8 v[36:39], a[52:53], v[16:17], v[36:39]// 000000006F80: D3F30024 0C922134
	buffer_load_dwordx4 a[8:11], v202, s[12:15], 0 offen offset:1024// 000000006F88: E05C1400 808308CA
	v_mfma_f32_16x16x32_fp8_fp8 v[36:39], a[54:55], v[18:19], v[36:39]// 000000006F90: D3F30024 0C922536
	v_mfma_f32_16x16x32_fp8_fp8 v[40:43], a[56:57], v[12:13], 0// 000000006F98: D3F30028 0A021938
	v_mfma_f32_16x16x32_fp8_fp8 v[40:43], a[58:59], v[14:15], v[40:43]// 000000006FA0: D3F30028 0CA21D3A
	v_mfma_f32_16x16x32_fp8_fp8 v[40:43], a[60:61], v[16:17], v[40:43]// 000000006FA8: D3F30028 0CA2213C
	buffer_load_dwordx4 a[12:15], v203, s[12:15], 0 offen offset:1024// 000000006FB0: E05C1400 80830CCB
	v_mfma_f32_16x16x32_fp8_fp8 v[40:43], a[62:63], v[18:19], v[40:43]// 000000006FB8: D3F30028 0CA2253E
	v_mfma_f32_16x16x32_fp8_fp8 v[44:47], a[32:33], v[20:21], 0// 000000006FC0: D3F3002C 0A022920
	v_mfma_f32_16x16x32_fp8_fp8 v[44:47], a[34:35], v[22:23], v[44:47]// 000000006FC8: D3F3002C 0CB22D22
	v_mfma_f32_16x16x32_fp8_fp8 v[44:47], a[36:37], v[24:25], v[44:47]// 000000006FD0: D3F3002C 0CB23124
	buffer_load_dwordx4 a[16:19], v202, s[12:15], 0 offen offset:2048// 000000006FD8: E05C1800 808310CA
	v_mfma_f32_16x16x32_fp8_fp8 v[44:47], a[38:39], v[26:27], v[44:47]// 000000006FE0: D3F3002C 0CB23526
	v_mfma_f32_16x16x32_fp8_fp8 v[48:51], a[40:41], v[20:21], 0// 000000006FE8: D3F30030 0A022928
	v_mfma_f32_16x16x32_fp8_fp8 v[48:51], a[42:43], v[22:23], v[48:51]// 000000006FF0: D3F30030 0CC22D2A
	v_mfma_f32_16x16x32_fp8_fp8 v[48:51], a[44:45], v[24:25], v[48:51]// 000000006FF8: D3F30030 0CC2312C
	buffer_load_dwordx4 a[20:23], v203, s[12:15], 0 offen offset:2048// 000000007000: E05C1800 808314CB
	v_mfma_f32_16x16x32_fp8_fp8 v[48:51], a[46:47], v[26:27], v[48:51]// 000000007008: D3F30030 0CC2352E
	v_mfma_f32_16x16x32_fp8_fp8 v[52:55], a[48:49], v[20:21], 0// 000000007010: D3F30034 0A022930
	v_mfma_f32_16x16x32_fp8_fp8 v[52:55], a[50:51], v[22:23], v[52:55]// 000000007018: D3F30034 0CD22D32
	v_mfma_f32_16x16x32_fp8_fp8 v[52:55], a[52:53], v[24:25], v[52:55]// 000000007020: D3F30034 0CD23134
	buffer_load_dwordx4 a[24:27], v202, s[12:15], 0 offen offset:3072// 000000007028: E05C1C00 808318CA
	v_mfma_f32_16x16x32_fp8_fp8 v[52:55], a[54:55], v[26:27], v[52:55]// 000000007030: D3F30034 0CD23536
	v_mfma_f32_16x16x32_fp8_fp8 v[56:59], a[56:57], v[20:21], 0// 000000007038: D3F30038 0A022938
	v_mfma_f32_16x16x32_fp8_fp8 v[56:59], a[58:59], v[22:23], v[56:59]// 000000007040: D3F30038 0CE22D3A
	v_mfma_f32_16x16x32_fp8_fp8 v[56:59], a[60:61], v[24:25], v[56:59]// 000000007048: D3F30038 0CE2313C
	buffer_load_dwordx4 a[28:31], v203, s[12:15], 0 offen offset:3072// 000000007050: E05C1C00 80831CCB
	v_mfma_f32_16x16x32_fp8_fp8 v[56:59], a[62:63], v[26:27], v[56:59]// 000000007058: D3F30038 0CE2353E
	s_waitcnt vmcnt(16)                                        // 000000007060: BF8C4F70
	v_pk_mul_f32 v[28:29], v[124:125], v[28:29]                // 000000007064: D3B1401C 1802397C
	v_pk_mul_f32 v[30:31], v[124:125], v[30:31]                // 00000000706C: D3B1401E 18023D7C
	v_mul_f32_dpp v28, v129, v28 row_newbcast:0 row_mask:0xf bank_mask:0xf// 000000007074: 0A3838FA FF015081
	v_mul_f32_dpp v29, v129, v29 row_newbcast:1 row_mask:0xf bank_mask:0xf// 00000000707C: 0A3A3AFA FF015181
	v_mul_f32_dpp v30, v129, v30 row_newbcast:2 row_mask:0xf bank_mask:0xf// 000000007084: 0A3C3CFA FF015281
	v_mul_f32_dpp v31, v129, v31 row_newbcast:3 row_mask:0xf bank_mask:0xf// 00000000708C: 0A3E3EFA FF015381
	v_pk_mul_f32 v[32:33], v[124:125], v[32:33]                // 000000007094: D3B14020 1802417C
	v_pk_mul_f32 v[34:35], v[124:125], v[34:35]                // 00000000709C: D3B14022 1802457C
	v_mul_f32_dpp v32, v129, v32 row_newbcast:4 row_mask:0xf bank_mask:0xf// 0000000070A4: 0A4040FA FF015481
	v_mul_f32_dpp v33, v129, v33 row_newbcast:5 row_mask:0xf bank_mask:0xf// 0000000070AC: 0A4242FA FF015581
	v_mul_f32_dpp v34, v129, v34 row_newbcast:6 row_mask:0xf bank_mask:0xf// 0000000070B4: 0A4444FA FF015681
	v_mul_f32_dpp v35, v129, v35 row_newbcast:7 row_mask:0xf bank_mask:0xf// 0000000070BC: 0A4646FA FF015781
	v_pk_mul_f32 v[36:37], v[124:125], v[36:37]                // 0000000070C4: D3B14024 1802497C
	v_pk_mul_f32 v[38:39], v[124:125], v[38:39]                // 0000000070CC: D3B14026 18024D7C
	v_mul_f32_dpp v36, v129, v36 row_newbcast:8 row_mask:0xf bank_mask:0xf// 0000000070D4: 0A4848FA FF015881
	v_mul_f32_dpp v37, v129, v37 row_newbcast:9 row_mask:0xf bank_mask:0xf// 0000000070DC: 0A4A4AFA FF015981
	v_mul_f32_dpp v38, v129, v38 row_newbcast:10 row_mask:0xf bank_mask:0xf// 0000000070E4: 0A4C4CFA FF015A81
	v_mul_f32_dpp v39, v129, v39 row_newbcast:11 row_mask:0xf bank_mask:0xf// 0000000070EC: 0A4E4EFA FF015B81
	v_pk_mul_f32 v[40:41], v[124:125], v[40:41]                // 0000000070F4: D3B14028 1802517C
	v_pk_mul_f32 v[42:43], v[124:125], v[42:43]                // 0000000070FC: D3B1402A 1802557C
	v_mul_f32_dpp v40, v129, v40 row_newbcast:12 row_mask:0xf bank_mask:0xf// 000000007104: 0A5050FA FF015C81
	v_mul_f32_dpp v41, v129, v41 row_newbcast:13 row_mask:0xf bank_mask:0xf// 00000000710C: 0A5252FA FF015D81
	v_mul_f32_dpp v42, v129, v42 row_newbcast:14 row_mask:0xf bank_mask:0xf// 000000007114: 0A5454FA FF015E81
	v_mul_f32_dpp v43, v129, v43 row_newbcast:15 row_mask:0xf bank_mask:0xf// 00000000711C: 0A5656FA FF015F81
	v_pk_mul_f32 v[44:45], v[126:127], v[44:45]                // 000000007124: D3B1402C 1802597E
	v_pk_mul_f32 v[46:47], v[126:127], v[46:47]                // 00000000712C: D3B1402E 18025D7E
	v_mul_f32_dpp v44, v129, v44 row_newbcast:0 row_mask:0xf bank_mask:0xf// 000000007134: 0A5858FA FF015081
	v_mul_f32_dpp v45, v129, v45 row_newbcast:1 row_mask:0xf bank_mask:0xf// 00000000713C: 0A5A5AFA FF015181
	v_mul_f32_dpp v46, v129, v46 row_newbcast:2 row_mask:0xf bank_mask:0xf// 000000007144: 0A5C5CFA FF015281
	v_mul_f32_dpp v47, v129, v47 row_newbcast:3 row_mask:0xf bank_mask:0xf// 00000000714C: 0A5E5EFA FF015381
	v_pk_mul_f32 v[48:49], v[126:127], v[48:49]                // 000000007154: D3B14030 1802617E
	v_pk_mul_f32 v[50:51], v[126:127], v[50:51]                // 00000000715C: D3B14032 1802657E
	v_mul_f32_dpp v48, v129, v48 row_newbcast:4 row_mask:0xf bank_mask:0xf// 000000007164: 0A6060FA FF015481
	v_mul_f32_dpp v49, v129, v49 row_newbcast:5 row_mask:0xf bank_mask:0xf// 00000000716C: 0A6262FA FF015581
	v_mul_f32_dpp v50, v129, v50 row_newbcast:6 row_mask:0xf bank_mask:0xf// 000000007174: 0A6464FA FF015681
	v_mul_f32_dpp v51, v129, v51 row_newbcast:7 row_mask:0xf bank_mask:0xf// 00000000717C: 0A6666FA FF015781
	v_pk_mul_f32 v[52:53], v[126:127], v[52:53]                // 000000007184: D3B14034 1802697E
	v_pk_mul_f32 v[54:55], v[126:127], v[54:55]                // 00000000718C: D3B14036 18026D7E
	v_mul_f32_dpp v52, v129, v52 row_newbcast:8 row_mask:0xf bank_mask:0xf// 000000007194: 0A6868FA FF015881
	v_mul_f32_dpp v53, v129, v53 row_newbcast:9 row_mask:0xf bank_mask:0xf// 00000000719C: 0A6A6AFA FF015981
	v_mul_f32_dpp v54, v129, v54 row_newbcast:10 row_mask:0xf bank_mask:0xf// 0000000071A4: 0A6C6CFA FF015A81
	v_mul_f32_dpp v55, v129, v55 row_newbcast:11 row_mask:0xf bank_mask:0xf// 0000000071AC: 0A6E6EFA FF015B81
	v_pk_mul_f32 v[56:57], v[126:127], v[56:57]                // 0000000071B4: D3B14038 1802717E
	v_pk_mul_f32 v[58:59], v[126:127], v[58:59]                // 0000000071BC: D3B1403A 1802757E
	v_mul_f32_dpp v56, v129, v56 row_newbcast:12 row_mask:0xf bank_mask:0xf// 0000000071C4: 0A7070FA FF015C81
	v_mul_f32_dpp v57, v129, v57 row_newbcast:13 row_mask:0xf bank_mask:0xf// 0000000071CC: 0A7272FA FF015D81
	v_mul_f32_dpp v58, v129, v58 row_newbcast:14 row_mask:0xf bank_mask:0xf// 0000000071D4: 0A7474FA FF015E81
	v_mul_f32_dpp v59, v129, v59 row_newbcast:15 row_mask:0xf bank_mask:0xf// 0000000071DC: 0A7676FA FF015F81
	v_mov_b32_e32 v150, v28                                    // 0000000071E4: 7F2C031C
	v_max3_f32 v150, v28, v29, v150                            // 0000000071E8: D1D30096 065A3B1C
	v_max3_f32 v150, v30, v31, v150                            // 0000000071F0: D1D30096 065A3F1E
	v_max3_f32 v150, v32, v33, v150                            // 0000000071F8: D1D30096 065A4320
	v_max3_f32 v150, v34, v35, v150                            // 000000007200: D1D30096 065A4722
	v_max3_f32 v150, v36, v37, v150                            // 000000007208: D1D30096 065A4B24
	v_max3_f32 v150, v38, v39, v150                            // 000000007210: D1D30096 065A4F26
	v_max3_f32 v150, v40, v41, v150                            // 000000007218: D1D30096 065A5328
	v_max3_f32 v150, v42, v43, v150                            // 000000007220: D1D30096 065A572A
	v_mov_b32_e32 v151, v44                                    // 000000007228: 7F2E032C
	v_max3_f32 v151, v44, v45, v151                            // 00000000722C: D1D30097 065E5B2C
	v_max3_f32 v151, v46, v47, v151                            // 000000007234: D1D30097 065E5F2E
	v_max3_f32 v151, v48, v49, v151                            // 00000000723C: D1D30097 065E6330
	v_max3_f32 v151, v50, v51, v151                            // 000000007244: D1D30097 065E6732
	v_max3_f32 v151, v52, v53, v151                            // 00000000724C: D1D30097 065E6B34
	v_max3_f32 v151, v54, v55, v151                            // 000000007254: D1D30097 065E6F36
	v_max3_f32 v151, v56, v57, v151                            // 00000000725C: D1D30097 065E7338
	v_max3_f32 v151, v58, v59, v151                            // 000000007264: D1D30097 065E773A
	ds_write_b64 v220, v[150:151]                              // 00000000726C: D89A0000 000096DC
	v_pk_mul_f32 v[108:109], v[142:143], v[108:109]            // 000000007274: D3B1406C 1802D98E
	v_pk_mul_f32 v[110:111], v[142:143], v[110:111]            // 00000000727C: D3B1406E 1802DD8E
	v_pk_mul_f32 v[112:113], v[142:143], v[112:113]            // 000000007284: D3B14070 1802E18E
	v_pk_mul_f32 v[114:115], v[142:143], v[114:115]            // 00000000728C: D3B14072 1802E58E
	v_pk_mul_f32 v[116:117], v[144:145], v[116:117]            // 000000007294: D3B14074 1802E990
	v_pk_mul_f32 v[118:119], v[144:145], v[118:119]            // 00000000729C: D3B14076 1802ED90
	v_pk_mul_f32 v[120:121], v[144:145], v[120:121]            // 0000000072A4: D3B14078 1802F190
	v_pk_mul_f32 v[122:123], v[144:145], v[122:123]            // 0000000072AC: D3B1407A 1802F590
	s_waitcnt lgkmcnt(0)                                       // 0000000072B4: BF8CC07F
	s_barrier                                                  // 0000000072B8: BF8A0000
	v_pk_mul_f32 v[92:93], v[132:133], v[92:93]                // 0000000072BC: D3B1405C 1802B984
	v_pk_mul_f32 v[94:95], v[132:133], v[94:95]                // 0000000072C4: D3B1405E 1802BD84
	v_pk_mul_f32 v[96:97], v[132:133], v[96:97]                // 0000000072CC: D3B14060 1802C184
	v_pk_mul_f32 v[98:99], v[132:133], v[98:99]                // 0000000072D4: D3B14062 1802C584
	v_pk_mul_f32 v[100:101], v[134:135], v[100:101]            // 0000000072DC: D3B14064 1802C986
	v_pk_mul_f32 v[102:103], v[134:135], v[102:103]            // 0000000072E4: D3B14066 1802CD86
	v_pk_mul_f32 v[104:105], v[134:135], v[104:105]            // 0000000072EC: D3B14068 1802D186
	v_pk_mul_f32 v[106:107], v[134:135], v[106:107]            // 0000000072F4: D3B1406A 1802D586
	ds_read_b64 v[154:155], v221                               // 0000000072FC: D8EC0000 9A0000DD
	ds_read_b64 v[156:157], v221 offset:128                    // 000000007304: D8EC0080 9C0000DD
	ds_read_b64 v[158:159], v221 offset:256                    // 00000000730C: D8EC0100 9E0000DD
	ds_read_b64 v[160:161], v221 offset:384                    // 000000007314: D8EC0180 A00000DD
	ds_read_b64 v[162:163], v221 offset:512                    // 00000000731C: D8EC0200 A20000DD
	ds_read_b64 v[164:165], v221 offset:640                    // 000000007324: D8EC0280 A40000DD
	ds_read_b64 v[166:167], v221 offset:768                    // 00000000732C: D8EC0300 A60000DD
	ds_read_b64 v[168:169], v221 offset:896                    // 000000007334: D8EC0380 A80000DD
	ds_read_b64 v[170:171], v221 offset:1024                   // 00000000733C: D8EC0400 AA0000DD
	ds_read_b64 v[172:173], v221 offset:1152                   // 000000007344: D8EC0480 AC0000DD
	ds_read_b64 v[174:175], v221 offset:1280                   // 00000000734C: D8EC0500 AE0000DD
	ds_read_b64 v[176:177], v221 offset:1408                   // 000000007354: D8EC0580 B00000DD
	ds_read_b64 v[178:179], v221 offset:1536                   // 00000000735C: D8EC0600 B20000DD
	ds_read_b64 v[180:181], v221 offset:1664                   // 000000007364: D8EC0680 B40000DD
	ds_read_b64 v[182:183], v221 offset:1792                   // 00000000736C: D8EC0700 B60000DD
	ds_read_b64 v[184:185], v221 offset:1920                   // 000000007374: D8EC0780 B80000DD
	s_waitcnt lgkmcnt(0)                                       // 00000000737C: BF8CC07F
	v_max3_f32 v150, v154, v156, v150                          // 000000007380: D1D30096 065B399A
	v_max3_f32 v151, v155, v157, v151                          // 000000007388: D1D30097 065F3B9B
	v_max3_f32 v150, v158, v160, v150                          // 000000007390: D1D30096 065B419E
	v_max3_f32 v151, v159, v161, v151                          // 000000007398: D1D30097 065F439F
	v_max3_f32 v150, v162, v164, v150                          // 0000000073A0: D1D30096 065B49A2
	v_max3_f32 v151, v163, v165, v151                          // 0000000073A8: D1D30097 065F4BA3
	v_max3_f32 v150, v166, v168, v150                          // 0000000073B0: D1D30096 065B51A6
	v_max3_f32 v151, v167, v169, v151                          // 0000000073B8: D1D30097 065F53A7
	v_max3_f32 v150, v170, v172, v150                          // 0000000073C0: D1D30096 065B59AA
	v_max3_f32 v151, v171, v173, v151                          // 0000000073C8: D1D30097 065F5BAB
	v_max3_f32 v150, v174, v176, v150                          // 0000000073D0: D1D30096 065B61AE
	v_max3_f32 v151, v175, v177, v151                          // 0000000073D8: D1D30097 065F63AF
	v_max3_f32 v150, v178, v180, v150                          // 0000000073E0: D1D30096 065B69B2
	v_max3_f32 v151, v179, v181, v151                          // 0000000073E8: D1D30097 065F6BB3
	v_max3_f32 v150, v182, v184, v150                          // 0000000073F0: D1D30096 065B71B6
	v_max3_f32 v151, v183, v185, v151                          // 0000000073F8: D1D30097 065F73B7
	v_max_f32_e32 v140, v150, v138                             // 000000007400: 17191596
	v_mul_f32_e64 v186, -s46, v140                             // 000000007404: D10500BA 2003182E
	v_mov_b32_e32 v187, v186                                   // 00000000740C: 7F7603BA
	v_pk_fma_f32 v[28:29], v[28:29], s[46:47], v[186:187]      // 000000007410: D3B0401C 1EE85D1C
	v_pk_fma_f32 v[30:31], v[30:31], s[46:47], v[186:187]      // 000000007418: D3B0401E 1EE85D1E
	v_exp_f32_e32 v28, v28                                     // 000000007420: 7E38411C
	v_exp_f32_e32 v29, v29                                     // 000000007424: 7E3A411D
	v_exp_f32_e32 v30, v30                                     // 000000007428: 7E3C411E
	v_exp_f32_e32 v31, v31                                     // 00000000742C: 7E3E411F
	v_pk_fma_f32 v[32:33], v[32:33], s[46:47], v[186:187]      // 000000007430: D3B04020 1EE85D20
	v_pk_fma_f32 v[34:35], v[34:35], s[46:47], v[186:187]      // 000000007438: D3B04022 1EE85D22
	v_exp_f32_e32 v32, v32                                     // 000000007440: 7E404120
	v_exp_f32_e32 v33, v33                                     // 000000007444: 7E424121
	v_exp_f32_e32 v34, v34                                     // 000000007448: 7E444122
	v_exp_f32_e32 v35, v35                                     // 00000000744C: 7E464123
	v_pk_fma_f32 v[36:37], v[36:37], s[46:47], v[186:187]      // 000000007450: D3B04024 1EE85D24
	v_pk_fma_f32 v[38:39], v[38:39], s[46:47], v[186:187]      // 000000007458: D3B04026 1EE85D26
	v_exp_f32_e32 v36, v36                                     // 000000007460: 7E484124
	v_exp_f32_e32 v37, v37                                     // 000000007464: 7E4A4125
	v_exp_f32_e32 v38, v38                                     // 000000007468: 7E4C4126
	v_exp_f32_e32 v39, v39                                     // 00000000746C: 7E4E4127
	v_pk_fma_f32 v[40:41], v[40:41], s[46:47], v[186:187]      // 000000007470: D3B04028 1EE85D28
	v_pk_fma_f32 v[42:43], v[42:43], s[46:47], v[186:187]      // 000000007478: D3B0402A 1EE85D2A
	v_exp_f32_e32 v40, v40                                     // 000000007480: 7E504128
	v_exp_f32_e32 v41, v41                                     // 000000007484: 7E524129
	v_exp_f32_e32 v42, v42                                     // 000000007488: 7E54412A
	v_exp_f32_e32 v43, v43                                     // 00000000748C: 7E56412B
	v_max_f32_e32 v141, v151, v139                             // 000000007490: 171B1797
	v_mul_f32_e64 v186, -s46, v141                             // 000000007494: D10500BA 20031A2E
	v_mov_b32_e32 v187, v186                                   // 00000000749C: 7F7603BA
	v_pk_fma_f32 v[44:45], v[44:45], s[46:47], v[186:187]      // 0000000074A0: D3B0402C 1EE85D2C
	v_pk_fma_f32 v[46:47], v[46:47], s[46:47], v[186:187]      // 0000000074A8: D3B0402E 1EE85D2E
	v_exp_f32_e32 v44, v44                                     // 0000000074B0: 7E58412C
	v_exp_f32_e32 v45, v45                                     // 0000000074B4: 7E5A412D
	v_exp_f32_e32 v46, v46                                     // 0000000074B8: 7E5C412E
	v_exp_f32_e32 v47, v47                                     // 0000000074BC: 7E5E412F
	v_pk_fma_f32 v[48:49], v[48:49], s[46:47], v[186:187]      // 0000000074C0: D3B04030 1EE85D30
	v_pk_fma_f32 v[50:51], v[50:51], s[46:47], v[186:187]      // 0000000074C8: D3B04032 1EE85D32
	v_exp_f32_e32 v48, v48                                     // 0000000074D0: 7E604130
	v_exp_f32_e32 v49, v49                                     // 0000000074D4: 7E624131
	v_exp_f32_e32 v50, v50                                     // 0000000074D8: 7E644132
	v_exp_f32_e32 v51, v51                                     // 0000000074DC: 7E664133
	v_pk_fma_f32 v[52:53], v[52:53], s[46:47], v[186:187]      // 0000000074E0: D3B04034 1EE85D34
	v_pk_fma_f32 v[54:55], v[54:55], s[46:47], v[186:187]      // 0000000074E8: D3B04036 1EE85D36
	v_exp_f32_e32 v52, v52                                     // 0000000074F0: 7E684134
	v_exp_f32_e32 v53, v53                                     // 0000000074F4: 7E6A4135
	v_exp_f32_e32 v54, v54                                     // 0000000074F8: 7E6C4136
	v_exp_f32_e32 v55, v55                                     // 0000000074FC: 7E6E4137
	v_pk_fma_f32 v[56:57], v[56:57], s[46:47], v[186:187]      // 000000007500: D3B04038 1EE85D38
	v_pk_fma_f32 v[58:59], v[58:59], s[46:47], v[186:187]      // 000000007508: D3B0403A 1EE85D3A
	v_exp_f32_e32 v56, v56                                     // 000000007510: 7E704138
	v_exp_f32_e32 v57, v57                                     // 000000007514: 7E724139
	v_exp_f32_e32 v58, v58                                     // 000000007518: 7E74413A
	v_exp_f32_e32 v59, v59                                     // 00000000751C: 7E76413B
	v_mul_f32_dpp v60, v131, v28 row_newbcast:0 row_mask:0xf bank_mask:0xf// 000000007520: 0A7838FA FF015083
	v_mul_f32_dpp v61, v131, v29 row_newbcast:1 row_mask:0xf bank_mask:0xf// 000000007528: 0A7A3AFA FF015183
	v_mul_f32_dpp v62, v131, v30 row_newbcast:2 row_mask:0xf bank_mask:0xf// 000000007530: 0A7C3CFA FF015283
	v_mul_f32_dpp v63, v131, v31 row_newbcast:3 row_mask:0xf bank_mask:0xf// 000000007538: 0A7E3EFA FF015383
	v_mul_f32_dpp v64, v131, v32 row_newbcast:4 row_mask:0xf bank_mask:0xf// 000000007540: 0A8040FA FF015483
	v_mul_f32_dpp v65, v131, v33 row_newbcast:5 row_mask:0xf bank_mask:0xf// 000000007548: 0A8242FA FF015583
	v_mul_f32_dpp v66, v131, v34 row_newbcast:6 row_mask:0xf bank_mask:0xf// 000000007550: 0A8444FA FF015683
	v_mul_f32_dpp v67, v131, v35 row_newbcast:7 row_mask:0xf bank_mask:0xf// 000000007558: 0A8646FA FF015783
	v_mul_f32_dpp v68, v131, v36 row_newbcast:8 row_mask:0xf bank_mask:0xf// 000000007560: 0A8848FA FF015883
	v_mul_f32_dpp v69, v131, v37 row_newbcast:9 row_mask:0xf bank_mask:0xf// 000000007568: 0A8A4AFA FF015983
	v_mul_f32_dpp v70, v131, v38 row_newbcast:10 row_mask:0xf bank_mask:0xf// 000000007570: 0A8C4CFA FF015A83
	v_mul_f32_dpp v71, v131, v39 row_newbcast:11 row_mask:0xf bank_mask:0xf// 000000007578: 0A8E4EFA FF015B83
	v_mul_f32_dpp v72, v131, v40 row_newbcast:12 row_mask:0xf bank_mask:0xf// 000000007580: 0A9050FA FF015C83
	v_mul_f32_dpp v73, v131, v41 row_newbcast:13 row_mask:0xf bank_mask:0xf// 000000007588: 0A9252FA FF015D83
	v_mul_f32_dpp v74, v131, v42 row_newbcast:14 row_mask:0xf bank_mask:0xf// 000000007590: 0A9454FA FF015E83
	v_mul_f32_dpp v75, v131, v43 row_newbcast:15 row_mask:0xf bank_mask:0xf// 000000007598: 0A9656FA FF015F83
	v_mul_f32_dpp v76, v131, v44 row_newbcast:0 row_mask:0xf bank_mask:0xf// 0000000075A0: 0A9858FA FF015083
	v_mul_f32_dpp v77, v131, v45 row_newbcast:1 row_mask:0xf bank_mask:0xf// 0000000075A8: 0A9A5AFA FF015183
	v_mul_f32_dpp v78, v131, v46 row_newbcast:2 row_mask:0xf bank_mask:0xf// 0000000075B0: 0A9C5CFA FF015283
	v_mul_f32_dpp v79, v131, v47 row_newbcast:3 row_mask:0xf bank_mask:0xf// 0000000075B8: 0A9E5EFA FF015383
	v_mul_f32_dpp v80, v131, v48 row_newbcast:4 row_mask:0xf bank_mask:0xf// 0000000075C0: 0AA060FA FF015483
	v_mul_f32_dpp v81, v131, v49 row_newbcast:5 row_mask:0xf bank_mask:0xf// 0000000075C8: 0AA262FA FF015583
	v_mul_f32_dpp v82, v131, v50 row_newbcast:6 row_mask:0xf bank_mask:0xf// 0000000075D0: 0AA464FA FF015683
	v_mul_f32_dpp v83, v131, v51 row_newbcast:7 row_mask:0xf bank_mask:0xf// 0000000075D8: 0AA666FA FF015783
	v_mul_f32_dpp v84, v131, v52 row_newbcast:8 row_mask:0xf bank_mask:0xf// 0000000075E0: 0AA868FA FF015883
	v_mul_f32_dpp v85, v131, v53 row_newbcast:9 row_mask:0xf bank_mask:0xf// 0000000075E8: 0AAA6AFA FF015983
	v_mul_f32_dpp v86, v131, v54 row_newbcast:10 row_mask:0xf bank_mask:0xf// 0000000075F0: 0AAC6CFA FF015A83
	v_mul_f32_dpp v87, v131, v55 row_newbcast:11 row_mask:0xf bank_mask:0xf// 0000000075F8: 0AAE6EFA FF015B83
	v_mul_f32_dpp v88, v131, v56 row_newbcast:12 row_mask:0xf bank_mask:0xf// 000000007600: 0AB070FA FF015C83
	v_mul_f32_dpp v89, v131, v57 row_newbcast:13 row_mask:0xf bank_mask:0xf// 000000007608: 0AB272FA FF015D83
	v_mul_f32_dpp v90, v131, v58 row_newbcast:14 row_mask:0xf bank_mask:0xf// 000000007610: 0AB474FA FF015E83
	v_mul_f32_dpp v91, v131, v59 row_newbcast:15 row_mask:0xf bank_mask:0xf// 000000007618: 0AB676FA FF015F83
	buffer_load_dword v128, v208, s[20:23], 0 offen            // 000000007620: E0501000 800580D0
	v_sub_f32_e32 v142, v138, v140                             // 000000007628: 051D198A
	v_cmp_eq_u32_e64 s[98:99], v197, v138                      // 00000000762C: D0CA0062 000315C5
	v_cndmask_b32_e64 v142, v142, 0, s[98:99]                  // 000000007634: D100008E 0189018E
	v_mov_b32_e32 v138, v140                                   // 00000000763C: 7F14038C
	v_mul_f32_e32 v142, s46, v142                              // 000000007640: 0B1D1C2E
	v_exp_f32_e32 v142, v142                                   // 000000007644: 7F1C418E
	v_sub_f32_e32 v144, v139, v141                             // 000000007648: 05211B8B
	v_cmp_eq_u32_e64 s[98:99], v197, v139                      // 00000000764C: D0CA0062 000317C5
	v_cndmask_b32_e64 v144, v144, 0, s[98:99]                  // 000000007654: D1000090 01890190
	v_mov_b32_e32 v139, v141                                   // 00000000765C: 7F16038D
	v_mul_f32_e32 v144, s46, v144                              // 000000007660: 0B21202E
	v_exp_f32_e32 v144, v144                                   // 000000007664: 7F204190
	v_mov_b32_e32 v143, v142                                   // 000000007668: 7F1E038E
	v_mov_b32_e32 v145, v144                                   // 00000000766C: 7F220390
	buffer_load_dword v130, v209, s[24:27], 0 offen            // 000000007670: E0501000 800682D1
	s_waitcnt lgkmcnt(0)                                       // 000000007678: BF8CC07F
	s_barrier                                                  // 00000000767C: BF8A0000
	v_mul_f32_e32 v146, v142, v146                             // 000000007680: 0B25258E
	v_mov_b32_e32 v147, 0                                      // 000000007684: 7F260280
	v_pk_add_f32 v[146:147], v[28:29], v[146:147]              // 000000007688: D3B24092 1803251C
	v_pk_add_f32 v[146:147], v[30:31], v[146:147]              // 000000007690: D3B24092 1803251E
	v_pk_add_f32 v[146:147], v[32:33], v[146:147]              // 000000007698: D3B24092 18032520
	v_pk_add_f32 v[146:147], v[34:35], v[146:147]              // 0000000076A0: D3B24092 18032522
	v_pk_add_f32 v[146:147], v[36:37], v[146:147]              // 0000000076A8: D3B24092 18032524
	v_pk_add_f32 v[146:147], v[38:39], v[146:147]              // 0000000076B0: D3B24092 18032526
	v_pk_add_f32 v[146:147], v[40:41], v[146:147]              // 0000000076B8: D3B24092 18032528
	v_pk_add_f32 v[146:147], v[42:43], v[146:147]              // 0000000076C0: D3B24092 1803252A
	v_add_f32_e32 v146, v147, v146                             // 0000000076C8: 03252593
	v_mul_f32_e32 v148, v144, v148                             // 0000000076CC: 0B292990
	v_mov_b32_e32 v149, 0                                      // 0000000076D0: 7F2A0280
	v_pk_add_f32 v[148:149], v[44:45], v[148:149]              // 0000000076D4: D3B24094 1803292C
	v_pk_add_f32 v[148:149], v[46:47], v[148:149]              // 0000000076DC: D3B24094 1803292E
	v_pk_add_f32 v[148:149], v[48:49], v[148:149]              // 0000000076E4: D3B24094 18032930
	v_pk_add_f32 v[148:149], v[50:51], v[148:149]              // 0000000076EC: D3B24094 18032932
	v_pk_add_f32 v[148:149], v[52:53], v[148:149]              // 0000000076F4: D3B24094 18032934
	v_pk_add_f32 v[148:149], v[54:55], v[148:149]              // 0000000076FC: D3B24094 18032936
	v_pk_add_f32 v[148:149], v[56:57], v[148:149]              // 000000007704: D3B24094 18032938
	v_pk_add_f32 v[148:149], v[58:59], v[148:149]              // 00000000770C: D3B24094 1803293A
	v_add_f32_e32 v148, v149, v148                             // 000000007714: 03292995
	s_waitcnt lgkmcnt(0)                                       // 000000007718: BF8CC07F
	v_sub_f32_e32 v150, v150, v138                             // 00000000771C: 052D1596
	v_sub_f32_e32 v151, v151, v139                             // 000000007720: 052F1797
	v_mul_f32_e32 v150, s46, v150                              // 000000007724: 0B2D2C2E
	v_mul_f32_e32 v151, s46, v151                              // 000000007728: 0B2F2E2E
	v_exp_f32_e32 v150, v150                                   // 00000000772C: 7F2C4196
	v_exp_f32_e32 v151, v151                                   // 000000007730: 7F2E4197
	v_mul_f32_e32 v150, v131, v150                             // 000000007734: 0B2D2D83
	v_mul_f32_e32 v151, v131, v151                             // 000000007738: 0B2F2F83
	v_add_f32_e32 v150, 0x3089705f, v150                       // 00000000773C: 032D2CFF 3089705F
	v_add_f32_e32 v151, 0x3089705f, v151                       // 000000007744: 032F2EFF 3089705F
	v_rcp_f32_e32 v150, v150                                   // 00000000774C: 7F2C4596
	v_rcp_f32_e32 v151, v151                                   // 000000007750: 7F2E4597
	v_mul_f32_e32 v150, 0x43700000, v150                       // 000000007754: 0B2D2CFF 43700000
	v_mul_f32_e32 v151, 0x43700000, v151                       // 00000000775C: 0B2F2EFF 43700000
	v_mov_b32_e32 v152, v151                                   // 000000007764: 7F300397
	v_mov_b32_e32 v153, v151                                   // 000000007768: 7F320397
	v_mov_b32_e32 v151, v150                                   // 00000000776C: 7F2E0396
	v_pk_mul_f32 v[28:29], v[150:151], v[60:61]                // 000000007770: D3B1401C 18027996
	v_pk_mul_f32 v[30:31], v[150:151], v[62:63]                // 000000007778: D3B1401E 18027D96
	v_pk_mul_f32 v[32:33], v[150:151], v[64:65]                // 000000007780: D3B14020 18028196
	v_pk_mul_f32 v[34:35], v[150:151], v[66:67]                // 000000007788: D3B14022 18028596
	v_pk_mul_f32 v[36:37], v[150:151], v[68:69]                // 000000007790: D3B14024 18028996
	v_pk_mul_f32 v[38:39], v[150:151], v[70:71]                // 000000007798: D3B14026 18028D96
	v_pk_mul_f32 v[40:41], v[150:151], v[72:73]                // 0000000077A0: D3B14028 18029196
	v_pk_mul_f32 v[42:43], v[150:151], v[74:75]                // 0000000077A8: D3B1402A 18029596
	v_pk_mul_f32 v[44:45], v[152:153], v[76:77]                // 0000000077B0: D3B1402C 18029998
	v_pk_mul_f32 v[46:47], v[152:153], v[78:79]                // 0000000077B8: D3B1402E 18029D98
	v_pk_mul_f32 v[48:49], v[152:153], v[80:81]                // 0000000077C0: D3B14030 1802A198
	v_pk_mul_f32 v[50:51], v[152:153], v[82:83]                // 0000000077C8: D3B14032 1802A598
	v_pk_mul_f32 v[52:53], v[152:153], v[84:85]                // 0000000077D0: D3B14034 1802A998
	v_pk_mul_f32 v[54:55], v[152:153], v[86:87]                // 0000000077D8: D3B14036 1802AD98
	v_pk_mul_f32 v[56:57], v[152:153], v[88:89]                // 0000000077E0: D3B14038 1802B198
	v_pk_mul_f32 v[58:59], v[152:153], v[90:91]                // 0000000077E8: D3B1403A 1802B598
	v_cvt_pk_fp8_f32 v28, v28, v29                             // 0000000077F0: D2A2001C 00023B1C
	v_cvt_pk_fp8_f32 v28, v30, v31 op_sel:[0,0,1]              // 0000000077F8: D2A2401C 00023F1E
	v_cvt_pk_fp8_f32 v29, v32, v33                             // 000000007800: D2A2001D 00024320
	v_cvt_pk_fp8_f32 v29, v34, v35 op_sel:[0,0,1]              // 000000007808: D2A2401D 00024722
	v_cvt_pk_fp8_f32 v30, v36, v37                             // 000000007810: D2A2001E 00024B24
	v_cvt_pk_fp8_f32 v30, v38, v39 op_sel:[0,0,1]              // 000000007818: D2A2401E 00024F26
	v_cvt_pk_fp8_f32 v31, v40, v41                             // 000000007820: D2A2001F 00025328
	v_cvt_pk_fp8_f32 v31, v42, v43 op_sel:[0,0,1]              // 000000007828: D2A2401F 0002572A
	v_cvt_pk_fp8_f32 v32, v44, v45                             // 000000007830: D2A20020 00025B2C
	v_cvt_pk_fp8_f32 v32, v46, v47 op_sel:[0,0,1]              // 000000007838: D2A24020 00025F2E
	v_cvt_pk_fp8_f32 v33, v48, v49                             // 000000007840: D2A20021 00026330
	v_cvt_pk_fp8_f32 v33, v50, v51 op_sel:[0,0,1]              // 000000007848: D2A24021 00026732
	v_cvt_pk_fp8_f32 v34, v52, v53                             // 000000007850: D2A20022 00026B34
	v_cvt_pk_fp8_f32 v34, v54, v55 op_sel:[0,0,1]              // 000000007858: D2A24022 00026F36
	v_cvt_pk_fp8_f32 v35, v56, v57                             // 000000007860: D2A20023 00027338
	v_cvt_pk_fp8_f32 v35, v58, v59 op_sel:[0,0,1]              // 000000007868: D2A24023 0002773A
	ds_write_b32 v222, v28 offset:4608                         // 000000007870: D81A1200 00001CDE
	ds_write_b32 v222, v29 offset:5632                         // 000000007878: D81A1600 00001DDE
	ds_write_b32 v222, v30 offset:6656                         // 000000007880: D81A1A00 00001EDE
	ds_write_b32 v222, v31 offset:7680                         // 000000007888: D81A1E00 00001FDE
	ds_write_b32 v222, v32 offset:8704                         // 000000007890: D81A2200 000020DE
	ds_write_b32 v222, v33 offset:9728                         // 000000007898: D81A2600 000021DE
	ds_write_b32 v222, v34 offset:10752                        // 0000000078A0: D81A2A00 000022DE
	ds_write_b32 v222, v35 offset:11776                        // 0000000078A8: D81A2E00 000023DE
	v_rcp_f32_e32 v132, v150                                   // 0000000078B0: 7F084596
	v_rcp_f32_e32 v134, v152                                   // 0000000078B4: 7F0C4598
	v_mov_b32_e32 v133, v132                                   // 0000000078B8: 7F0A0384
	v_mov_b32_e32 v135, v134                                   // 0000000078BC: 7F0E0386
	v_pk_add_f32 v[108:109], v[108:109], v[92:93]              // 0000000078C0: D3B2406C 1802B96C
	v_pk_add_f32 v[110:111], v[110:111], v[94:95]              // 0000000078C8: D3B2406E 1802BD6E
	v_pk_add_f32 v[112:113], v[112:113], v[96:97]              // 0000000078D0: D3B24070 1802C170
	v_pk_add_f32 v[114:115], v[114:115], v[98:99]              // 0000000078D8: D3B24072 1802C572
	v_pk_add_f32 v[116:117], v[116:117], v[100:101]            // 0000000078E0: D3B24074 1802C974
	v_pk_add_f32 v[118:119], v[118:119], v[102:103]            // 0000000078E8: D3B24076 1802CD76
	v_pk_add_f32 v[120:121], v[120:121], v[104:105]            // 0000000078F0: D3B24078 1802D178
	v_pk_add_f32 v[122:123], v[122:123], v[106:107]            // 0000000078F8: D3B2407A 1802D57A
	s_waitcnt lgkmcnt(0)                                       // 000000007900: BF8CC07F
	s_barrier                                                  // 000000007904: BF8A0000
	ds_read_b128 v[28:31], v223 offset:4608                    // 000000007908: D9FE1200 1C0000DF
	ds_read_b128 v[32:35], v223 offset:5632                    // 000000007910: D9FE1600 200000DF
	ds_read_b128 v[36:39], v223 offset:6656                    // 000000007918: D9FE1A00 240000DF
	ds_read_b128 v[40:43], v223 offset:7680                    // 000000007920: D9FE1E00 280000DF
	ds_read_b128 v[44:47], v223 offset:8704                    // 000000007928: D9FE2200 2C0000DF
	ds_read_b128 v[48:51], v223 offset:9728                    // 000000007930: D9FE2600 300000DF
	ds_read_b128 v[52:55], v223 offset:10752                   // 000000007938: D9FE2A00 340000DF
	ds_read_b128 v[56:59], v223 offset:11776                   // 000000007940: D9FE2E00 380000DF
	s_waitcnt vmcnt(10)                                        // 000000007948: BF8C0F7A
	s_waitcnt lgkmcnt(7)                                       // 00000000794C: BF8CC77F
	v_mfma_f32_16x16x32_fp8_fp8 v[92:95], a[96:97], v[28:29], 0// 000000007950: D3F3005C 0A023960
	v_mfma_f32_16x16x32_fp8_fp8 v[96:99], a[112:113], v[28:29], 0// 000000007958: D3F30060 0A023970
	v_mfma_f32_16x16x32_fp8_fp8 v[92:95], a[98:99], v[30:31], v[92:95]// 000000007960: D3F3005C 0D723D62
	buffer_load_dwordx4 a[64:67], v204, s[16:19], 0 offen      // 000000007968: E05C1000 808440CC
	v_mfma_f32_16x16x32_fp8_fp8 v[96:99], a[114:115], v[30:31], v[96:99]// 000000007970: D3F30060 0D823D72
	s_waitcnt lgkmcnt(6)                                       // 000000007978: BF8CC67F
	v_mfma_f32_16x16x32_fp8_fp8 v[92:95], a[100:101], v[32:33], v[92:95]// 00000000797C: D3F3005C 0D724164
	v_mfma_f32_16x16x32_fp8_fp8 v[96:99], a[116:117], v[32:33], v[96:99]// 000000007984: D3F30060 0D824174
	v_mfma_f32_16x16x32_fp8_fp8 v[92:95], a[102:103], v[34:35], v[92:95]// 00000000798C: D3F3005C 0D724566
	buffer_load_dwordx4 a[68:71], v205, s[16:19], 0 offen      // 000000007994: E05C1000 808444CD
	v_mfma_f32_16x16x32_fp8_fp8 v[96:99], a[118:119], v[34:35], v[96:99]// 00000000799C: D3F30060 0D824576
	s_waitcnt lgkmcnt(5)                                       // 0000000079A4: BF8CC57F
	v_mfma_f32_16x16x32_fp8_fp8 v[92:95], a[104:105], v[36:37], v[92:95]// 0000000079A8: D3F3005C 0D724968
	v_mfma_f32_16x16x32_fp8_fp8 v[96:99], a[120:121], v[36:37], v[96:99]// 0000000079B0: D3F30060 0D824978
	v_mfma_f32_16x16x32_fp8_fp8 v[92:95], a[106:107], v[38:39], v[92:95]// 0000000079B8: D3F3005C 0D724D6A
	buffer_load_dwordx4 a[72:75], v206, s[16:19], 0 offen      // 0000000079C0: E05C1000 808448CE
	v_mfma_f32_16x16x32_fp8_fp8 v[96:99], a[122:123], v[38:39], v[96:99]// 0000000079C8: D3F30060 0D824D7A
	s_waitcnt lgkmcnt(4)                                       // 0000000079D0: BF8CC47F
	v_mfma_f32_16x16x32_fp8_fp8 v[92:95], a[108:109], v[40:41], v[92:95]// 0000000079D4: D3F3005C 0D72516C
	v_mfma_f32_16x16x32_fp8_fp8 v[96:99], a[124:125], v[40:41], v[96:99]// 0000000079DC: D3F30060 0D82517C
	v_mfma_f32_16x16x32_fp8_fp8 v[92:95], a[110:111], v[42:43], v[92:95]// 0000000079E4: D3F3005C 0D72556E
	buffer_load_dwordx4 a[76:79], v207, s[16:19], 0 offen      // 0000000079EC: E05C1000 80844CCF
	v_mfma_f32_16x16x32_fp8_fp8 v[96:99], a[126:127], v[42:43], v[96:99]// 0000000079F4: D3F30060 0D82557E
	s_waitcnt lgkmcnt(3)                                       // 0000000079FC: BF8CC37F
	v_mfma_f32_16x16x32_fp8_fp8 v[100:103], a[96:97], v[44:45], 0// 000000007A00: D3F30064 0A025960
	v_mfma_f32_16x16x32_fp8_fp8 v[104:107], a[112:113], v[44:45], 0// 000000007A08: D3F30068 0A025970
	v_mfma_f32_16x16x32_fp8_fp8 v[100:103], a[98:99], v[46:47], v[100:103]// 000000007A10: D3F30064 0D925D62
	buffer_load_dwordx4 a[80:83], v204, s[16:19], 0 offen offset:1024// 000000007A18: E05C1400 808450CC
	v_mfma_f32_16x16x32_fp8_fp8 v[104:107], a[114:115], v[46:47], v[104:107]// 000000007A20: D3F30068 0DA25D72
	s_waitcnt lgkmcnt(2)                                       // 000000007A28: BF8CC27F
	v_mfma_f32_16x16x32_fp8_fp8 v[100:103], a[100:101], v[48:49], v[100:103]// 000000007A2C: D3F30064 0D926164
	v_mfma_f32_16x16x32_fp8_fp8 v[104:107], a[116:117], v[48:49], v[104:107]// 000000007A34: D3F30068 0DA26174
	v_mfma_f32_16x16x32_fp8_fp8 v[100:103], a[102:103], v[50:51], v[100:103]// 000000007A3C: D3F30064 0D926566
	buffer_load_dwordx4 a[84:87], v205, s[16:19], 0 offen offset:1024// 000000007A44: E05C1400 808454CD
	v_mfma_f32_16x16x32_fp8_fp8 v[104:107], a[118:119], v[50:51], v[104:107]// 000000007A4C: D3F30068 0DA26576
	s_waitcnt lgkmcnt(1)                                       // 000000007A54: BF8CC17F
	v_mfma_f32_16x16x32_fp8_fp8 v[100:103], a[104:105], v[52:53], v[100:103]// 000000007A58: D3F30064 0D926968
	v_mfma_f32_16x16x32_fp8_fp8 v[104:107], a[120:121], v[52:53], v[104:107]// 000000007A60: D3F30068 0DA26978
	v_mfma_f32_16x16x32_fp8_fp8 v[100:103], a[106:107], v[54:55], v[100:103]// 000000007A68: D3F30064 0D926D6A
	buffer_load_dwordx4 a[88:91], v206, s[16:19], 0 offen offset:1024// 000000007A70: E05C1400 808458CE
	v_mfma_f32_16x16x32_fp8_fp8 v[104:107], a[122:123], v[54:55], v[104:107]// 000000007A78: D3F30068 0DA26D7A
	s_waitcnt lgkmcnt(0)                                       // 000000007A80: BF8CC07F
	v_mfma_f32_16x16x32_fp8_fp8 v[100:103], a[108:109], v[56:57], v[100:103]// 000000007A84: D3F30064 0D92716C
	v_mfma_f32_16x16x32_fp8_fp8 v[104:107], a[124:125], v[56:57], v[104:107]// 000000007A8C: D3F30068 0DA2717C
	v_mfma_f32_16x16x32_fp8_fp8 v[100:103], a[110:111], v[58:59], v[100:103]// 000000007A94: D3F30064 0D92756E
	buffer_load_dwordx4 a[92:95], v207, s[16:19], 0 offen offset:1024// 000000007A9C: E05C1400 80845CCF
	v_mfma_f32_16x16x32_fp8_fp8 v[104:107], a[126:127], v[58:59], v[104:107]// 000000007AA4: D3F30068 0DA2757E
	s_addk_i32 s64, 0x100                                      // 000000007AAC: B7400100
	s_cmp_lt_i32 s64, s63                                      // 000000007AB0: BF043F40
	s_cbranch_scc0 label_262A                                  // 000000007AB4: BF8410FC
	s_waitcnt vmcnt(10)                                        // 000000007AB8: BF8C0F7A
	v_mfma_f32_16x16x32_fp8_fp8 v[28:31], a[0:1], v[12:13], 0  // 000000007ABC: D3F3001C 0A021900
	s_add_u32 s12, s86, s69                                    // 000000007AC4: 800C4556
	s_addc_u32 s13, s87, 0                                     // 000000007AC8: 820D8057
	v_mfma_f32_16x16x32_fp8_fp8 v[28:31], a[2:3], v[14:15], v[28:31]// 000000007ACC: D3F3001C 0C721D02
	s_add_u32 s16, s88, s70                                    // 000000007AD4: 80104658
	s_addc_u32 s17, s89, 0                                     // 000000007AD8: 82118059
	v_mfma_f32_16x16x32_fp8_fp8 v[28:31], a[4:5], v[16:17], v[28:31]// 000000007ADC: D3F3001C 0C722104
	buffer_load_dwordx4 a[32:35], v202, s[12:15], 0 offen      // 000000007AE4: E05C1000 808320CA
	v_mfma_f32_16x16x32_fp8_fp8 v[28:31], a[6:7], v[18:19], v[28:31]// 000000007AEC: D3F3001C 0C722506
	s_add_u32 s20, s90, s71                                    // 000000007AF4: 8014475A
	s_addc_u32 s21, s91, 0                                     // 000000007AF8: 8215805B
	v_mfma_f32_16x16x32_fp8_fp8 v[32:35], a[8:9], v[12:13], 0  // 000000007AFC: D3F30020 0A021908
	s_add_u32 s24, s92, s71                                    // 000000007B04: 8018475C
	s_addc_u32 s25, s93, 0                                     // 000000007B08: 8219805D
	v_mfma_f32_16x16x32_fp8_fp8 v[32:35], a[10:11], v[14:15], v[32:35]// 000000007B0C: D3F30020 0C821D0A
	s_mul_i32 s69, s59, s50                                    // 000000007B14: 9245323B
	s_mul_i32 s71, s59, s66                                    // 000000007B18: 9247423B
	v_mfma_f32_16x16x32_fp8_fp8 v[32:35], a[12:13], v[16:17], v[32:35]// 000000007B1C: D3F30020 0C82210C
	buffer_load_dwordx4 a[36:39], v203, s[12:15], 0 offen      // 000000007B24: E05C1000 808324CB
	v_mfma_f32_16x16x32_fp8_fp8 v[32:35], a[14:15], v[18:19], v[32:35]// 000000007B2C: D3F30020 0C82250E
	s_mul_i32 s54, s78, s51                                    // 000000007B34: 9236334E
	s_add_u32 s69, s69, s54                                    // 000000007B38: 80453645
	v_mfma_f32_16x16x32_fp8_fp8 v[36:39], a[16:17], v[12:13], 0// 000000007B3C: D3F30024 0A021910
	s_mov_b32 s70, s69                                         // 000000007B44: BEC60045
	v_mfma_f32_16x16x32_fp8_fp8 v[36:39], a[18:19], v[14:15], v[36:39]// 000000007B48: D3F30024 0C921D12
	s_mul_i32 s54, s78, 4                                      // 000000007B50: 9236844E
	s_add_u32 s71, s71, s54                                    // 000000007B54: 80473647
	v_mfma_f32_16x16x32_fp8_fp8 v[36:39], a[20:21], v[16:17], v[36:39]// 000000007B58: D3F30024 0C922114
	buffer_load_dwordx4 a[40:43], v202, s[12:15], 0 offen offset:1024// 000000007B60: E05C1400 808328CA
	v_mfma_f32_16x16x32_fp8_fp8 v[36:39], a[22:23], v[18:19], v[36:39]// 000000007B68: D3F30024 0C922516
	v_mfma_f32_16x16x32_fp8_fp8 v[40:43], a[24:25], v[12:13], 0// 000000007B70: D3F30028 0A021918
	v_mfma_f32_16x16x32_fp8_fp8 v[40:43], a[26:27], v[14:15], v[40:43]// 000000007B78: D3F30028 0CA21D1A
	v_mfma_f32_16x16x32_fp8_fp8 v[40:43], a[28:29], v[16:17], v[40:43]// 000000007B80: D3F30028 0CA2211C
	buffer_load_dwordx4 a[44:47], v203, s[12:15], 0 offen offset:1024// 000000007B88: E05C1400 80832CCB
	v_mfma_f32_16x16x32_fp8_fp8 v[40:43], a[30:31], v[18:19], v[40:43]// 000000007B90: D3F30028 0CA2251E
	v_mfma_f32_16x16x32_fp8_fp8 v[44:47], a[0:1], v[20:21], 0  // 000000007B98: D3F3002C 0A022900
	v_mfma_f32_16x16x32_fp8_fp8 v[44:47], a[2:3], v[22:23], v[44:47]// 000000007BA0: D3F3002C 0CB22D02
	v_mfma_f32_16x16x32_fp8_fp8 v[44:47], a[4:5], v[24:25], v[44:47]// 000000007BA8: D3F3002C 0CB23104
	buffer_load_dwordx4 a[48:51], v202, s[12:15], 0 offen offset:2048// 000000007BB0: E05C1800 808330CA
	v_mfma_f32_16x16x32_fp8_fp8 v[44:47], a[6:7], v[26:27], v[44:47]// 000000007BB8: D3F3002C 0CB23506
	v_mfma_f32_16x16x32_fp8_fp8 v[48:51], a[8:9], v[20:21], 0  // 000000007BC0: D3F30030 0A022908
	v_mfma_f32_16x16x32_fp8_fp8 v[48:51], a[10:11], v[22:23], v[48:51]// 000000007BC8: D3F30030 0CC22D0A
	v_mfma_f32_16x16x32_fp8_fp8 v[48:51], a[12:13], v[24:25], v[48:51]// 000000007BD0: D3F30030 0CC2310C
	buffer_load_dwordx4 a[52:55], v203, s[12:15], 0 offen offset:2048// 000000007BD8: E05C1800 808334CB
	v_mfma_f32_16x16x32_fp8_fp8 v[48:51], a[14:15], v[26:27], v[48:51]// 000000007BE0: D3F30030 0CC2350E
	v_mfma_f32_16x16x32_fp8_fp8 v[52:55], a[16:17], v[20:21], 0// 000000007BE8: D3F30034 0A022910
	v_mfma_f32_16x16x32_fp8_fp8 v[52:55], a[18:19], v[22:23], v[52:55]// 000000007BF0: D3F30034 0CD22D12
	v_mfma_f32_16x16x32_fp8_fp8 v[52:55], a[20:21], v[24:25], v[52:55]// 000000007BF8: D3F30034 0CD23114
	buffer_load_dwordx4 a[56:59], v202, s[12:15], 0 offen offset:3072// 000000007C00: E05C1C00 808338CA
	v_mfma_f32_16x16x32_fp8_fp8 v[52:55], a[22:23], v[26:27], v[52:55]// 000000007C08: D3F30034 0CD23516
	v_mfma_f32_16x16x32_fp8_fp8 v[56:59], a[24:25], v[20:21], 0// 000000007C10: D3F30038 0A022918
	v_mfma_f32_16x16x32_fp8_fp8 v[56:59], a[26:27], v[22:23], v[56:59]// 000000007C18: D3F30038 0CE22D1A
	v_mfma_f32_16x16x32_fp8_fp8 v[56:59], a[28:29], v[24:25], v[56:59]// 000000007C20: D3F30038 0CE2311C
	buffer_load_dwordx4 a[60:63], v203, s[12:15], 0 offen offset:3072// 000000007C28: E05C1C00 80833CCB
	v_mfma_f32_16x16x32_fp8_fp8 v[56:59], a[30:31], v[26:27], v[56:59]// 000000007C30: D3F30038 0CE2351E
	s_waitcnt vmcnt(16)                                        // 000000007C38: BF8C4F70
	v_pk_mul_f32 v[28:29], v[124:125], v[28:29]                // 000000007C3C: D3B1401C 1802397C
	v_pk_mul_f32 v[30:31], v[124:125], v[30:31]                // 000000007C44: D3B1401E 18023D7C
	v_mul_f32_dpp v28, v128, v28 row_newbcast:0 row_mask:0xf bank_mask:0xf// 000000007C4C: 0A3838FA FF015080
	v_mul_f32_dpp v29, v128, v29 row_newbcast:1 row_mask:0xf bank_mask:0xf// 000000007C54: 0A3A3AFA FF015180
	v_mul_f32_dpp v30, v128, v30 row_newbcast:2 row_mask:0xf bank_mask:0xf// 000000007C5C: 0A3C3CFA FF015280
	v_mul_f32_dpp v31, v128, v31 row_newbcast:3 row_mask:0xf bank_mask:0xf// 000000007C64: 0A3E3EFA FF015380
	v_pk_mul_f32 v[32:33], v[124:125], v[32:33]                // 000000007C6C: D3B14020 1802417C
	v_pk_mul_f32 v[34:35], v[124:125], v[34:35]                // 000000007C74: D3B14022 1802457C
	v_mul_f32_dpp v32, v128, v32 row_newbcast:4 row_mask:0xf bank_mask:0xf// 000000007C7C: 0A4040FA FF015480
	v_mul_f32_dpp v33, v128, v33 row_newbcast:5 row_mask:0xf bank_mask:0xf// 000000007C84: 0A4242FA FF015580
	v_mul_f32_dpp v34, v128, v34 row_newbcast:6 row_mask:0xf bank_mask:0xf// 000000007C8C: 0A4444FA FF015680
	v_mul_f32_dpp v35, v128, v35 row_newbcast:7 row_mask:0xf bank_mask:0xf// 000000007C94: 0A4646FA FF015780
	v_pk_mul_f32 v[36:37], v[124:125], v[36:37]                // 000000007C9C: D3B14024 1802497C
	v_pk_mul_f32 v[38:39], v[124:125], v[38:39]                // 000000007CA4: D3B14026 18024D7C
	v_mul_f32_dpp v36, v128, v36 row_newbcast:8 row_mask:0xf bank_mask:0xf// 000000007CAC: 0A4848FA FF015880
	v_mul_f32_dpp v37, v128, v37 row_newbcast:9 row_mask:0xf bank_mask:0xf// 000000007CB4: 0A4A4AFA FF015980
	v_mul_f32_dpp v38, v128, v38 row_newbcast:10 row_mask:0xf bank_mask:0xf// 000000007CBC: 0A4C4CFA FF015A80
	v_mul_f32_dpp v39, v128, v39 row_newbcast:11 row_mask:0xf bank_mask:0xf// 000000007CC4: 0A4E4EFA FF015B80
	v_pk_mul_f32 v[40:41], v[124:125], v[40:41]                // 000000007CCC: D3B14028 1802517C
	v_pk_mul_f32 v[42:43], v[124:125], v[42:43]                // 000000007CD4: D3B1402A 1802557C
	v_mul_f32_dpp v40, v128, v40 row_newbcast:12 row_mask:0xf bank_mask:0xf// 000000007CDC: 0A5050FA FF015C80
	v_mul_f32_dpp v41, v128, v41 row_newbcast:13 row_mask:0xf bank_mask:0xf// 000000007CE4: 0A5252FA FF015D80
	v_mul_f32_dpp v42, v128, v42 row_newbcast:14 row_mask:0xf bank_mask:0xf// 000000007CEC: 0A5454FA FF015E80
	v_mul_f32_dpp v43, v128, v43 row_newbcast:15 row_mask:0xf bank_mask:0xf// 000000007CF4: 0A5656FA FF015F80
	v_pk_mul_f32 v[44:45], v[126:127], v[44:45]                // 000000007CFC: D3B1402C 1802597E
	v_pk_mul_f32 v[46:47], v[126:127], v[46:47]                // 000000007D04: D3B1402E 18025D7E
	v_mul_f32_dpp v44, v128, v44 row_newbcast:0 row_mask:0xf bank_mask:0xf// 000000007D0C: 0A5858FA FF015080
	v_mul_f32_dpp v45, v128, v45 row_newbcast:1 row_mask:0xf bank_mask:0xf// 000000007D14: 0A5A5AFA FF015180
	v_mul_f32_dpp v46, v128, v46 row_newbcast:2 row_mask:0xf bank_mask:0xf// 000000007D1C: 0A5C5CFA FF015280
	v_mul_f32_dpp v47, v128, v47 row_newbcast:3 row_mask:0xf bank_mask:0xf// 000000007D24: 0A5E5EFA FF015380
	v_pk_mul_f32 v[48:49], v[126:127], v[48:49]                // 000000007D2C: D3B14030 1802617E
	v_pk_mul_f32 v[50:51], v[126:127], v[50:51]                // 000000007D34: D3B14032 1802657E
	v_mul_f32_dpp v48, v128, v48 row_newbcast:4 row_mask:0xf bank_mask:0xf// 000000007D3C: 0A6060FA FF015480
	v_mul_f32_dpp v49, v128, v49 row_newbcast:5 row_mask:0xf bank_mask:0xf// 000000007D44: 0A6262FA FF015580
	v_mul_f32_dpp v50, v128, v50 row_newbcast:6 row_mask:0xf bank_mask:0xf// 000000007D4C: 0A6464FA FF015680
	v_mul_f32_dpp v51, v128, v51 row_newbcast:7 row_mask:0xf bank_mask:0xf// 000000007D54: 0A6666FA FF015780
	v_pk_mul_f32 v[52:53], v[126:127], v[52:53]                // 000000007D5C: D3B14034 1802697E
	v_pk_mul_f32 v[54:55], v[126:127], v[54:55]                // 000000007D64: D3B14036 18026D7E
	v_mul_f32_dpp v52, v128, v52 row_newbcast:8 row_mask:0xf bank_mask:0xf// 000000007D6C: 0A6868FA FF015880
	v_mul_f32_dpp v53, v128, v53 row_newbcast:9 row_mask:0xf bank_mask:0xf// 000000007D74: 0A6A6AFA FF015980
	v_mul_f32_dpp v54, v128, v54 row_newbcast:10 row_mask:0xf bank_mask:0xf// 000000007D7C: 0A6C6CFA FF015A80
	v_mul_f32_dpp v55, v128, v55 row_newbcast:11 row_mask:0xf bank_mask:0xf// 000000007D84: 0A6E6EFA FF015B80
	v_pk_mul_f32 v[56:57], v[126:127], v[56:57]                // 000000007D8C: D3B14038 1802717E
	v_pk_mul_f32 v[58:59], v[126:127], v[58:59]                // 000000007D94: D3B1403A 1802757E
	v_mul_f32_dpp v56, v128, v56 row_newbcast:12 row_mask:0xf bank_mask:0xf// 000000007D9C: 0A7070FA FF015C80
	v_mul_f32_dpp v57, v128, v57 row_newbcast:13 row_mask:0xf bank_mask:0xf// 000000007DA4: 0A7272FA FF015D80
	v_mul_f32_dpp v58, v128, v58 row_newbcast:14 row_mask:0xf bank_mask:0xf// 000000007DAC: 0A7474FA FF015E80
	v_mul_f32_dpp v59, v128, v59 row_newbcast:15 row_mask:0xf bank_mask:0xf// 000000007DB4: 0A7676FA FF015F80
	v_mov_b32_e32 v150, v28                                    // 000000007DBC: 7F2C031C
	v_max3_f32 v150, v28, v29, v150                            // 000000007DC0: D1D30096 065A3B1C
	v_max3_f32 v150, v30, v31, v150                            // 000000007DC8: D1D30096 065A3F1E
	v_max3_f32 v150, v32, v33, v150                            // 000000007DD0: D1D30096 065A4320
	v_max3_f32 v150, v34, v35, v150                            // 000000007DD8: D1D30096 065A4722
	v_max3_f32 v150, v36, v37, v150                            // 000000007DE0: D1D30096 065A4B24
	v_max3_f32 v150, v38, v39, v150                            // 000000007DE8: D1D30096 065A4F26
	v_max3_f32 v150, v40, v41, v150                            // 000000007DF0: D1D30096 065A5328
	v_max3_f32 v150, v42, v43, v150                            // 000000007DF8: D1D30096 065A572A
	v_mov_b32_e32 v151, v44                                    // 000000007E00: 7F2E032C
	v_max3_f32 v151, v44, v45, v151                            // 000000007E04: D1D30097 065E5B2C
	v_max3_f32 v151, v46, v47, v151                            // 000000007E0C: D1D30097 065E5F2E
	v_max3_f32 v151, v48, v49, v151                            // 000000007E14: D1D30097 065E6330
	v_max3_f32 v151, v50, v51, v151                            // 000000007E1C: D1D30097 065E6732
	v_max3_f32 v151, v52, v53, v151                            // 000000007E24: D1D30097 065E6B34
	v_max3_f32 v151, v54, v55, v151                            // 000000007E2C: D1D30097 065E6F36
	v_max3_f32 v151, v56, v57, v151                            // 000000007E34: D1D30097 065E7338
	v_max3_f32 v151, v58, v59, v151                            // 000000007E3C: D1D30097 065E773A
	ds_write_b64 v220, v[150:151]                              // 000000007E44: D89A0000 000096DC
	v_pk_mul_f32 v[108:109], v[142:143], v[108:109]            // 000000007E4C: D3B1406C 1802D98E
	v_pk_mul_f32 v[110:111], v[142:143], v[110:111]            // 000000007E54: D3B1406E 1802DD8E
	v_pk_mul_f32 v[112:113], v[142:143], v[112:113]            // 000000007E5C: D3B14070 1802E18E
	v_pk_mul_f32 v[114:115], v[142:143], v[114:115]            // 000000007E64: D3B14072 1802E58E
	v_pk_mul_f32 v[116:117], v[144:145], v[116:117]            // 000000007E6C: D3B14074 1802E990
	v_pk_mul_f32 v[118:119], v[144:145], v[118:119]            // 000000007E74: D3B14076 1802ED90
	v_pk_mul_f32 v[120:121], v[144:145], v[120:121]            // 000000007E7C: D3B14078 1802F190
	v_pk_mul_f32 v[122:123], v[144:145], v[122:123]            // 000000007E84: D3B1407A 1802F590
	s_waitcnt lgkmcnt(0)                                       // 000000007E8C: BF8CC07F
	s_barrier                                                  // 000000007E90: BF8A0000
	v_pk_mul_f32 v[92:93], v[132:133], v[92:93]                // 000000007E94: D3B1405C 1802B984
	v_pk_mul_f32 v[94:95], v[132:133], v[94:95]                // 000000007E9C: D3B1405E 1802BD84
	v_pk_mul_f32 v[96:97], v[132:133], v[96:97]                // 000000007EA4: D3B14060 1802C184
	v_pk_mul_f32 v[98:99], v[132:133], v[98:99]                // 000000007EAC: D3B14062 1802C584
	v_pk_mul_f32 v[100:101], v[134:135], v[100:101]            // 000000007EB4: D3B14064 1802C986
	v_pk_mul_f32 v[102:103], v[134:135], v[102:103]            // 000000007EBC: D3B14066 1802CD86
	v_pk_mul_f32 v[104:105], v[134:135], v[104:105]            // 000000007EC4: D3B14068 1802D186
	v_pk_mul_f32 v[106:107], v[134:135], v[106:107]            // 000000007ECC: D3B1406A 1802D586
	ds_read_b64 v[154:155], v221                               // 000000007ED4: D8EC0000 9A0000DD
	ds_read_b64 v[156:157], v221 offset:128                    // 000000007EDC: D8EC0080 9C0000DD
	ds_read_b64 v[158:159], v221 offset:256                    // 000000007EE4: D8EC0100 9E0000DD
	ds_read_b64 v[160:161], v221 offset:384                    // 000000007EEC: D8EC0180 A00000DD
	ds_read_b64 v[162:163], v221 offset:512                    // 000000007EF4: D8EC0200 A20000DD
	ds_read_b64 v[164:165], v221 offset:640                    // 000000007EFC: D8EC0280 A40000DD
	ds_read_b64 v[166:167], v221 offset:768                    // 000000007F04: D8EC0300 A60000DD
	ds_read_b64 v[168:169], v221 offset:896                    // 000000007F0C: D8EC0380 A80000DD
	ds_read_b64 v[170:171], v221 offset:1024                   // 000000007F14: D8EC0400 AA0000DD
	ds_read_b64 v[172:173], v221 offset:1152                   // 000000007F1C: D8EC0480 AC0000DD
	ds_read_b64 v[174:175], v221 offset:1280                   // 000000007F24: D8EC0500 AE0000DD
	ds_read_b64 v[176:177], v221 offset:1408                   // 000000007F2C: D8EC0580 B00000DD
	ds_read_b64 v[178:179], v221 offset:1536                   // 000000007F34: D8EC0600 B20000DD
	ds_read_b64 v[180:181], v221 offset:1664                   // 000000007F3C: D8EC0680 B40000DD
	ds_read_b64 v[182:183], v221 offset:1792                   // 000000007F44: D8EC0700 B60000DD
	ds_read_b64 v[184:185], v221 offset:1920                   // 000000007F4C: D8EC0780 B80000DD
	s_waitcnt lgkmcnt(0)                                       // 000000007F54: BF8CC07F
	v_max3_f32 v150, v154, v156, v150                          // 000000007F58: D1D30096 065B399A
	v_max3_f32 v151, v155, v157, v151                          // 000000007F60: D1D30097 065F3B9B
	v_max3_f32 v150, v158, v160, v150                          // 000000007F68: D1D30096 065B419E
	v_max3_f32 v151, v159, v161, v151                          // 000000007F70: D1D30097 065F439F
	v_max3_f32 v150, v162, v164, v150                          // 000000007F78: D1D30096 065B49A2
	v_max3_f32 v151, v163, v165, v151                          // 000000007F80: D1D30097 065F4BA3
	v_max3_f32 v150, v166, v168, v150                          // 000000007F88: D1D30096 065B51A6
	v_max3_f32 v151, v167, v169, v151                          // 000000007F90: D1D30097 065F53A7
	v_max3_f32 v150, v170, v172, v150                          // 000000007F98: D1D30096 065B59AA
	v_max3_f32 v151, v171, v173, v151                          // 000000007FA0: D1D30097 065F5BAB
	v_max3_f32 v150, v174, v176, v150                          // 000000007FA8: D1D30096 065B61AE
	v_max3_f32 v151, v175, v177, v151                          // 000000007FB0: D1D30097 065F63AF
	v_max3_f32 v150, v178, v180, v150                          // 000000007FB8: D1D30096 065B69B2
	v_max3_f32 v151, v179, v181, v151                          // 000000007FC0: D1D30097 065F6BB3
	v_max3_f32 v150, v182, v184, v150                          // 000000007FC8: D1D30096 065B71B6
	v_max3_f32 v151, v183, v185, v151                          // 000000007FD0: D1D30097 065F73B7
	v_max_f32_e32 v140, v150, v138                             // 000000007FD8: 17191596
	v_mul_f32_e64 v186, -s46, v140                             // 000000007FDC: D10500BA 2003182E
	v_mov_b32_e32 v187, v186                                   // 000000007FE4: 7F7603BA
	v_pk_fma_f32 v[28:29], v[28:29], s[46:47], v[186:187]      // 000000007FE8: D3B0401C 1EE85D1C
	v_pk_fma_f32 v[30:31], v[30:31], s[46:47], v[186:187]      // 000000007FF0: D3B0401E 1EE85D1E
	v_exp_f32_e32 v28, v28                                     // 000000007FF8: 7E38411C
	v_exp_f32_e32 v29, v29                                     // 000000007FFC: 7E3A411D
	v_exp_f32_e32 v30, v30                                     // 000000008000: 7E3C411E
	v_exp_f32_e32 v31, v31                                     // 000000008004: 7E3E411F
	v_pk_fma_f32 v[32:33], v[32:33], s[46:47], v[186:187]      // 000000008008: D3B04020 1EE85D20
	v_pk_fma_f32 v[34:35], v[34:35], s[46:47], v[186:187]      // 000000008010: D3B04022 1EE85D22
	v_exp_f32_e32 v32, v32                                     // 000000008018: 7E404120
	v_exp_f32_e32 v33, v33                                     // 00000000801C: 7E424121
	v_exp_f32_e32 v34, v34                                     // 000000008020: 7E444122
	v_exp_f32_e32 v35, v35                                     // 000000008024: 7E464123
	v_pk_fma_f32 v[36:37], v[36:37], s[46:47], v[186:187]      // 000000008028: D3B04024 1EE85D24
	v_pk_fma_f32 v[38:39], v[38:39], s[46:47], v[186:187]      // 000000008030: D3B04026 1EE85D26
	v_exp_f32_e32 v36, v36                                     // 000000008038: 7E484124
	v_exp_f32_e32 v37, v37                                     // 00000000803C: 7E4A4125
	v_exp_f32_e32 v38, v38                                     // 000000008040: 7E4C4126
	v_exp_f32_e32 v39, v39                                     // 000000008044: 7E4E4127
	v_pk_fma_f32 v[40:41], v[40:41], s[46:47], v[186:187]      // 000000008048: D3B04028 1EE85D28
	v_pk_fma_f32 v[42:43], v[42:43], s[46:47], v[186:187]      // 000000008050: D3B0402A 1EE85D2A
	v_exp_f32_e32 v40, v40                                     // 000000008058: 7E504128
	v_exp_f32_e32 v41, v41                                     // 00000000805C: 7E524129
	v_exp_f32_e32 v42, v42                                     // 000000008060: 7E54412A
	v_exp_f32_e32 v43, v43                                     // 000000008064: 7E56412B
	v_max_f32_e32 v141, v151, v139                             // 000000008068: 171B1797
	v_mul_f32_e64 v186, -s46, v141                             // 00000000806C: D10500BA 20031A2E
	v_mov_b32_e32 v187, v186                                   // 000000008074: 7F7603BA
	v_pk_fma_f32 v[44:45], v[44:45], s[46:47], v[186:187]      // 000000008078: D3B0402C 1EE85D2C
	v_pk_fma_f32 v[46:47], v[46:47], s[46:47], v[186:187]      // 000000008080: D3B0402E 1EE85D2E
	v_exp_f32_e32 v44, v44                                     // 000000008088: 7E58412C
	v_exp_f32_e32 v45, v45                                     // 00000000808C: 7E5A412D
	v_exp_f32_e32 v46, v46                                     // 000000008090: 7E5C412E
	v_exp_f32_e32 v47, v47                                     // 000000008094: 7E5E412F
	v_pk_fma_f32 v[48:49], v[48:49], s[46:47], v[186:187]      // 000000008098: D3B04030 1EE85D30
	v_pk_fma_f32 v[50:51], v[50:51], s[46:47], v[186:187]      // 0000000080A0: D3B04032 1EE85D32
	v_exp_f32_e32 v48, v48                                     // 0000000080A8: 7E604130
	v_exp_f32_e32 v49, v49                                     // 0000000080AC: 7E624131
	v_exp_f32_e32 v50, v50                                     // 0000000080B0: 7E644132
	v_exp_f32_e32 v51, v51                                     // 0000000080B4: 7E664133
	v_pk_fma_f32 v[52:53], v[52:53], s[46:47], v[186:187]      // 0000000080B8: D3B04034 1EE85D34
	v_pk_fma_f32 v[54:55], v[54:55], s[46:47], v[186:187]      // 0000000080C0: D3B04036 1EE85D36
	v_exp_f32_e32 v52, v52                                     // 0000000080C8: 7E684134
	v_exp_f32_e32 v53, v53                                     // 0000000080CC: 7E6A4135
	v_exp_f32_e32 v54, v54                                     // 0000000080D0: 7E6C4136
	v_exp_f32_e32 v55, v55                                     // 0000000080D4: 7E6E4137
	v_pk_fma_f32 v[56:57], v[56:57], s[46:47], v[186:187]      // 0000000080D8: D3B04038 1EE85D38
	v_pk_fma_f32 v[58:59], v[58:59], s[46:47], v[186:187]      // 0000000080E0: D3B0403A 1EE85D3A
	v_exp_f32_e32 v56, v56                                     // 0000000080E8: 7E704138
	v_exp_f32_e32 v57, v57                                     // 0000000080EC: 7E724139
	v_exp_f32_e32 v58, v58                                     // 0000000080F0: 7E74413A
	v_exp_f32_e32 v59, v59                                     // 0000000080F4: 7E76413B
	v_mul_f32_dpp v60, v130, v28 row_newbcast:0 row_mask:0xf bank_mask:0xf// 0000000080F8: 0A7838FA FF015082
	v_mul_f32_dpp v61, v130, v29 row_newbcast:1 row_mask:0xf bank_mask:0xf// 000000008100: 0A7A3AFA FF015182
	v_mul_f32_dpp v62, v130, v30 row_newbcast:2 row_mask:0xf bank_mask:0xf// 000000008108: 0A7C3CFA FF015282
	v_mul_f32_dpp v63, v130, v31 row_newbcast:3 row_mask:0xf bank_mask:0xf// 000000008110: 0A7E3EFA FF015382
	v_mul_f32_dpp v64, v130, v32 row_newbcast:4 row_mask:0xf bank_mask:0xf// 000000008118: 0A8040FA FF015482
	v_mul_f32_dpp v65, v130, v33 row_newbcast:5 row_mask:0xf bank_mask:0xf// 000000008120: 0A8242FA FF015582
	v_mul_f32_dpp v66, v130, v34 row_newbcast:6 row_mask:0xf bank_mask:0xf// 000000008128: 0A8444FA FF015682
	v_mul_f32_dpp v67, v130, v35 row_newbcast:7 row_mask:0xf bank_mask:0xf// 000000008130: 0A8646FA FF015782
	v_mul_f32_dpp v68, v130, v36 row_newbcast:8 row_mask:0xf bank_mask:0xf// 000000008138: 0A8848FA FF015882
	v_mul_f32_dpp v69, v130, v37 row_newbcast:9 row_mask:0xf bank_mask:0xf// 000000008140: 0A8A4AFA FF015982
	v_mul_f32_dpp v70, v130, v38 row_newbcast:10 row_mask:0xf bank_mask:0xf// 000000008148: 0A8C4CFA FF015A82
	v_mul_f32_dpp v71, v130, v39 row_newbcast:11 row_mask:0xf bank_mask:0xf// 000000008150: 0A8E4EFA FF015B82
	v_mul_f32_dpp v72, v130, v40 row_newbcast:12 row_mask:0xf bank_mask:0xf// 000000008158: 0A9050FA FF015C82
	v_mul_f32_dpp v73, v130, v41 row_newbcast:13 row_mask:0xf bank_mask:0xf// 000000008160: 0A9252FA FF015D82
	v_mul_f32_dpp v74, v130, v42 row_newbcast:14 row_mask:0xf bank_mask:0xf// 000000008168: 0A9454FA FF015E82
	v_mul_f32_dpp v75, v130, v43 row_newbcast:15 row_mask:0xf bank_mask:0xf// 000000008170: 0A9656FA FF015F82
	v_mul_f32_dpp v76, v130, v44 row_newbcast:0 row_mask:0xf bank_mask:0xf// 000000008178: 0A9858FA FF015082
	v_mul_f32_dpp v77, v130, v45 row_newbcast:1 row_mask:0xf bank_mask:0xf// 000000008180: 0A9A5AFA FF015182
	v_mul_f32_dpp v78, v130, v46 row_newbcast:2 row_mask:0xf bank_mask:0xf// 000000008188: 0A9C5CFA FF015282
	v_mul_f32_dpp v79, v130, v47 row_newbcast:3 row_mask:0xf bank_mask:0xf// 000000008190: 0A9E5EFA FF015382
	v_mul_f32_dpp v80, v130, v48 row_newbcast:4 row_mask:0xf bank_mask:0xf// 000000008198: 0AA060FA FF015482
	v_mul_f32_dpp v81, v130, v49 row_newbcast:5 row_mask:0xf bank_mask:0xf// 0000000081A0: 0AA262FA FF015582
	v_mul_f32_dpp v82, v130, v50 row_newbcast:6 row_mask:0xf bank_mask:0xf// 0000000081A8: 0AA464FA FF015682
	v_mul_f32_dpp v83, v130, v51 row_newbcast:7 row_mask:0xf bank_mask:0xf// 0000000081B0: 0AA666FA FF015782
	v_mul_f32_dpp v84, v130, v52 row_newbcast:8 row_mask:0xf bank_mask:0xf// 0000000081B8: 0AA868FA FF015882
	v_mul_f32_dpp v85, v130, v53 row_newbcast:9 row_mask:0xf bank_mask:0xf// 0000000081C0: 0AAA6AFA FF015982
	v_mul_f32_dpp v86, v130, v54 row_newbcast:10 row_mask:0xf bank_mask:0xf// 0000000081C8: 0AAC6CFA FF015A82
	v_mul_f32_dpp v87, v130, v55 row_newbcast:11 row_mask:0xf bank_mask:0xf// 0000000081D0: 0AAE6EFA FF015B82
	v_mul_f32_dpp v88, v130, v56 row_newbcast:12 row_mask:0xf bank_mask:0xf// 0000000081D8: 0AB070FA FF015C82
	v_mul_f32_dpp v89, v130, v57 row_newbcast:13 row_mask:0xf bank_mask:0xf// 0000000081E0: 0AB272FA FF015D82
	v_mul_f32_dpp v90, v130, v58 row_newbcast:14 row_mask:0xf bank_mask:0xf// 0000000081E8: 0AB474FA FF015E82
	v_mul_f32_dpp v91, v130, v59 row_newbcast:15 row_mask:0xf bank_mask:0xf// 0000000081F0: 0AB676FA FF015F82
	buffer_load_dword v129, v208, s[20:23], 0 offen            // 0000000081F8: E0501000 800581D0
	v_sub_f32_e32 v142, v138, v140                             // 000000008200: 051D198A
	v_cmp_eq_u32_e64 s[98:99], v197, v138                      // 000000008204: D0CA0062 000315C5
	v_cndmask_b32_e64 v142, v142, 0, s[98:99]                  // 00000000820C: D100008E 0189018E
	v_mov_b32_e32 v138, v140                                   // 000000008214: 7F14038C
	v_mul_f32_e32 v142, s46, v142                              // 000000008218: 0B1D1C2E
	v_exp_f32_e32 v142, v142                                   // 00000000821C: 7F1C418E
	v_sub_f32_e32 v144, v139, v141                             // 000000008220: 05211B8B
	v_cmp_eq_u32_e64 s[98:99], v197, v139                      // 000000008224: D0CA0062 000317C5
	v_cndmask_b32_e64 v144, v144, 0, s[98:99]                  // 00000000822C: D1000090 01890190
	v_mov_b32_e32 v139, v141                                   // 000000008234: 7F16038D
	v_mul_f32_e32 v144, s46, v144                              // 000000008238: 0B21202E
	v_exp_f32_e32 v144, v144                                   // 00000000823C: 7F204190
	v_mov_b32_e32 v143, v142                                   // 000000008240: 7F1E038E
	v_mov_b32_e32 v145, v144                                   // 000000008244: 7F220390
	buffer_load_dword v131, v209, s[24:27], 0 offen            // 000000008248: E0501000 800683D1
	s_waitcnt lgkmcnt(0)                                       // 000000008250: BF8CC07F
	s_barrier                                                  // 000000008254: BF8A0000
	v_mul_f32_e32 v146, v142, v146                             // 000000008258: 0B25258E
	v_mov_b32_e32 v147, 0                                      // 00000000825C: 7F260280
	v_pk_add_f32 v[146:147], v[28:29], v[146:147]              // 000000008260: D3B24092 1803251C
	v_pk_add_f32 v[146:147], v[30:31], v[146:147]              // 000000008268: D3B24092 1803251E
	v_pk_add_f32 v[146:147], v[32:33], v[146:147]              // 000000008270: D3B24092 18032520
	v_pk_add_f32 v[146:147], v[34:35], v[146:147]              // 000000008278: D3B24092 18032522
	;; [unrolled: 1-line block ×5, first 2 shown]
	v_pk_add_f32 v[146:147], v[42:43], v[146:147]              // 000000008298: D3B24092 1803252A
	v_add_f32_e32 v146, v147, v146                             // 0000000082A0: 03252593
	v_mul_f32_e32 v148, v144, v148                             // 0000000082A4: 0B292990
	v_mov_b32_e32 v149, 0                                      // 0000000082A8: 7F2A0280
	v_pk_add_f32 v[148:149], v[44:45], v[148:149]              // 0000000082AC: D3B24094 1803292C
	v_pk_add_f32 v[148:149], v[46:47], v[148:149]              // 0000000082B4: D3B24094 1803292E
	v_pk_add_f32 v[148:149], v[48:49], v[148:149]              // 0000000082BC: D3B24094 18032930
	v_pk_add_f32 v[148:149], v[50:51], v[148:149]              // 0000000082C4: D3B24094 18032932
	v_pk_add_f32 v[148:149], v[52:53], v[148:149]              // 0000000082CC: D3B24094 18032934
	v_pk_add_f32 v[148:149], v[54:55], v[148:149]              // 0000000082D4: D3B24094 18032936
	v_pk_add_f32 v[148:149], v[56:57], v[148:149]              // 0000000082DC: D3B24094 18032938
	v_pk_add_f32 v[148:149], v[58:59], v[148:149]              // 0000000082E4: D3B24094 1803293A
	v_add_f32_e32 v148, v149, v148                             // 0000000082EC: 03292995
	s_waitcnt lgkmcnt(0)                                       // 0000000082F0: BF8CC07F
	v_sub_f32_e32 v150, v150, v138                             // 0000000082F4: 052D1596
	v_sub_f32_e32 v151, v151, v139                             // 0000000082F8: 052F1797
	v_mul_f32_e32 v150, s46, v150                              // 0000000082FC: 0B2D2C2E
	v_mul_f32_e32 v151, s46, v151                              // 000000008300: 0B2F2E2E
	v_exp_f32_e32 v150, v150                                   // 000000008304: 7F2C4196
	v_exp_f32_e32 v151, v151                                   // 000000008308: 7F2E4197
	v_mul_f32_e32 v150, v130, v150                             // 00000000830C: 0B2D2D82
	v_mul_f32_e32 v151, v130, v151                             // 000000008310: 0B2F2F82
	v_add_f32_e32 v150, 0x3089705f, v150                       // 000000008314: 032D2CFF 3089705F
	v_add_f32_e32 v151, 0x3089705f, v151                       // 00000000831C: 032F2EFF 3089705F
	v_rcp_f32_e32 v150, v150                                   // 000000008324: 7F2C4596
	v_rcp_f32_e32 v151, v151                                   // 000000008328: 7F2E4597
	v_mul_f32_e32 v150, 0x43700000, v150                       // 00000000832C: 0B2D2CFF 43700000
	v_mul_f32_e32 v151, 0x43700000, v151                       // 000000008334: 0B2F2EFF 43700000
	v_mov_b32_e32 v152, v151                                   // 00000000833C: 7F300397
	v_mov_b32_e32 v153, v151                                   // 000000008340: 7F320397
	v_mov_b32_e32 v151, v150                                   // 000000008344: 7F2E0396
	v_pk_mul_f32 v[28:29], v[150:151], v[60:61]                // 000000008348: D3B1401C 18027996
	v_pk_mul_f32 v[30:31], v[150:151], v[62:63]                // 000000008350: D3B1401E 18027D96
	v_pk_mul_f32 v[32:33], v[150:151], v[64:65]                // 000000008358: D3B14020 18028196
	v_pk_mul_f32 v[34:35], v[150:151], v[66:67]                // 000000008360: D3B14022 18028596
	v_pk_mul_f32 v[36:37], v[150:151], v[68:69]                // 000000008368: D3B14024 18028996
	v_pk_mul_f32 v[38:39], v[150:151], v[70:71]                // 000000008370: D3B14026 18028D96
	v_pk_mul_f32 v[40:41], v[150:151], v[72:73]                // 000000008378: D3B14028 18029196
	v_pk_mul_f32 v[42:43], v[150:151], v[74:75]                // 000000008380: D3B1402A 18029596
	v_pk_mul_f32 v[44:45], v[152:153], v[76:77]                // 000000008388: D3B1402C 18029998
	v_pk_mul_f32 v[46:47], v[152:153], v[78:79]                // 000000008390: D3B1402E 18029D98
	v_pk_mul_f32 v[48:49], v[152:153], v[80:81]                // 000000008398: D3B14030 1802A198
	v_pk_mul_f32 v[50:51], v[152:153], v[82:83]                // 0000000083A0: D3B14032 1802A598
	v_pk_mul_f32 v[52:53], v[152:153], v[84:85]                // 0000000083A8: D3B14034 1802A998
	v_pk_mul_f32 v[54:55], v[152:153], v[86:87]                // 0000000083B0: D3B14036 1802AD98
	v_pk_mul_f32 v[56:57], v[152:153], v[88:89]                // 0000000083B8: D3B14038 1802B198
	v_pk_mul_f32 v[58:59], v[152:153], v[90:91]                // 0000000083C0: D3B1403A 1802B598
	v_cvt_pk_fp8_f32 v28, v28, v29                             // 0000000083C8: D2A2001C 00023B1C
	v_cvt_pk_fp8_f32 v28, v30, v31 op_sel:[0,0,1]              // 0000000083D0: D2A2401C 00023F1E
	v_cvt_pk_fp8_f32 v29, v32, v33                             // 0000000083D8: D2A2001D 00024320
	v_cvt_pk_fp8_f32 v29, v34, v35 op_sel:[0,0,1]              // 0000000083E0: D2A2401D 00024722
	v_cvt_pk_fp8_f32 v30, v36, v37                             // 0000000083E8: D2A2001E 00024B24
	v_cvt_pk_fp8_f32 v30, v38, v39 op_sel:[0,0,1]              // 0000000083F0: D2A2401E 00024F26
	v_cvt_pk_fp8_f32 v31, v40, v41                             // 0000000083F8: D2A2001F 00025328
	v_cvt_pk_fp8_f32 v31, v42, v43 op_sel:[0,0,1]              // 000000008400: D2A2401F 0002572A
	v_cvt_pk_fp8_f32 v32, v44, v45                             // 000000008408: D2A20020 00025B2C
	v_cvt_pk_fp8_f32 v32, v46, v47 op_sel:[0,0,1]              // 000000008410: D2A24020 00025F2E
	v_cvt_pk_fp8_f32 v33, v48, v49                             // 000000008418: D2A20021 00026330
	v_cvt_pk_fp8_f32 v33, v50, v51 op_sel:[0,0,1]              // 000000008420: D2A24021 00026732
	v_cvt_pk_fp8_f32 v34, v52, v53                             // 000000008428: D2A20022 00026B34
	v_cvt_pk_fp8_f32 v34, v54, v55 op_sel:[0,0,1]              // 000000008430: D2A24022 00026F36
	v_cvt_pk_fp8_f32 v35, v56, v57                             // 000000008438: D2A20023 00027338
	v_cvt_pk_fp8_f32 v35, v58, v59 op_sel:[0,0,1]              // 000000008440: D2A24023 0002773A
	ds_write_b32 v222, v28 offset:4608                         // 000000008448: D81A1200 00001CDE
	ds_write_b32 v222, v29 offset:5632                         // 000000008450: D81A1600 00001DDE
	ds_write_b32 v222, v30 offset:6656                         // 000000008458: D81A1A00 00001EDE
	ds_write_b32 v222, v31 offset:7680                         // 000000008460: D81A1E00 00001FDE
	ds_write_b32 v222, v32 offset:8704                         // 000000008468: D81A2200 000020DE
	ds_write_b32 v222, v33 offset:9728                         // 000000008470: D81A2600 000021DE
	ds_write_b32 v222, v34 offset:10752                        // 000000008478: D81A2A00 000022DE
	ds_write_b32 v222, v35 offset:11776                        // 000000008480: D81A2E00 000023DE
	v_rcp_f32_e32 v132, v150                                   // 000000008488: 7F084596
	v_rcp_f32_e32 v134, v152                                   // 00000000848C: 7F0C4598
	v_mov_b32_e32 v133, v132                                   // 000000008490: 7F0A0384
	v_mov_b32_e32 v135, v134                                   // 000000008494: 7F0E0386
	v_pk_add_f32 v[108:109], v[108:109], v[92:93]              // 000000008498: D3B2406C 1802B96C
	v_pk_add_f32 v[110:111], v[110:111], v[94:95]              // 0000000084A0: D3B2406E 1802BD6E
	v_pk_add_f32 v[112:113], v[112:113], v[96:97]              // 0000000084A8: D3B24070 1802C170
	v_pk_add_f32 v[114:115], v[114:115], v[98:99]              // 0000000084B0: D3B24072 1802C572
	v_pk_add_f32 v[116:117], v[116:117], v[100:101]            // 0000000084B8: D3B24074 1802C974
	v_pk_add_f32 v[118:119], v[118:119], v[102:103]            // 0000000084C0: D3B24076 1802CD76
	v_pk_add_f32 v[120:121], v[120:121], v[104:105]            // 0000000084C8: D3B24078 1802D178
	v_pk_add_f32 v[122:123], v[122:123], v[106:107]            // 0000000084D0: D3B2407A 1802D57A
	s_waitcnt lgkmcnt(0)                                       // 0000000084D8: BF8CC07F
	s_barrier                                                  // 0000000084DC: BF8A0000
	ds_read_b128 v[28:31], v223 offset:4608                    // 0000000084E0: D9FE1200 1C0000DF
	ds_read_b128 v[32:35], v223 offset:5632                    // 0000000084E8: D9FE1600 200000DF
	ds_read_b128 v[36:39], v223 offset:6656                    // 0000000084F0: D9FE1A00 240000DF
	ds_read_b128 v[40:43], v223 offset:7680                    // 0000000084F8: D9FE1E00 280000DF
	ds_read_b128 v[44:47], v223 offset:8704                    // 000000008500: D9FE2200 2C0000DF
	ds_read_b128 v[48:51], v223 offset:9728                    // 000000008508: D9FE2600 300000DF
	ds_read_b128 v[52:55], v223 offset:10752                   // 000000008510: D9FE2A00 340000DF
	ds_read_b128 v[56:59], v223 offset:11776                   // 000000008518: D9FE2E00 380000DF
	s_waitcnt vmcnt(10)                                        // 000000008520: BF8C0F7A
	s_waitcnt lgkmcnt(7)                                       // 000000008524: BF8CC77F
	v_mfma_f32_16x16x32_fp8_fp8 v[92:95], a[64:65], v[28:29], 0// 000000008528: D3F3005C 0A023940
	v_mfma_f32_16x16x32_fp8_fp8 v[96:99], a[80:81], v[28:29], 0// 000000008530: D3F30060 0A023950
	v_mfma_f32_16x16x32_fp8_fp8 v[92:95], a[66:67], v[30:31], v[92:95]// 000000008538: D3F3005C 0D723D42
	buffer_load_dwordx4 a[96:99], v204, s[16:19], 0 offen      // 000000008540: E05C1000 808460CC
	v_mfma_f32_16x16x32_fp8_fp8 v[96:99], a[82:83], v[30:31], v[96:99]// 000000008548: D3F30060 0D823D52
	s_waitcnt lgkmcnt(6)                                       // 000000008550: BF8CC67F
	v_mfma_f32_16x16x32_fp8_fp8 v[92:95], a[68:69], v[32:33], v[92:95]// 000000008554: D3F3005C 0D724144
	v_mfma_f32_16x16x32_fp8_fp8 v[96:99], a[84:85], v[32:33], v[96:99]// 00000000855C: D3F30060 0D824154
	v_mfma_f32_16x16x32_fp8_fp8 v[92:95], a[70:71], v[34:35], v[92:95]// 000000008564: D3F3005C 0D724546
	buffer_load_dwordx4 a[100:103], v205, s[16:19], 0 offen    // 00000000856C: E05C1000 808464CD
	v_mfma_f32_16x16x32_fp8_fp8 v[96:99], a[86:87], v[34:35], v[96:99]// 000000008574: D3F30060 0D824556
	s_waitcnt lgkmcnt(5)                                       // 00000000857C: BF8CC57F
	v_mfma_f32_16x16x32_fp8_fp8 v[92:95], a[72:73], v[36:37], v[92:95]// 000000008580: D3F3005C 0D724948
	v_mfma_f32_16x16x32_fp8_fp8 v[96:99], a[88:89], v[36:37], v[96:99]// 000000008588: D3F30060 0D824958
	v_mfma_f32_16x16x32_fp8_fp8 v[92:95], a[74:75], v[38:39], v[92:95]// 000000008590: D3F3005C 0D724D4A
	buffer_load_dwordx4 a[104:107], v206, s[16:19], 0 offen    // 000000008598: E05C1000 808468CE
	v_mfma_f32_16x16x32_fp8_fp8 v[96:99], a[90:91], v[38:39], v[96:99]// 0000000085A0: D3F30060 0D824D5A
	s_waitcnt lgkmcnt(4)                                       // 0000000085A8: BF8CC47F
	v_mfma_f32_16x16x32_fp8_fp8 v[92:95], a[76:77], v[40:41], v[92:95]// 0000000085AC: D3F3005C 0D72514C
	v_mfma_f32_16x16x32_fp8_fp8 v[96:99], a[92:93], v[40:41], v[96:99]// 0000000085B4: D3F30060 0D82515C
	v_mfma_f32_16x16x32_fp8_fp8 v[92:95], a[78:79], v[42:43], v[92:95]// 0000000085BC: D3F3005C 0D72554E
	buffer_load_dwordx4 a[108:111], v207, s[16:19], 0 offen    // 0000000085C4: E05C1000 80846CCF
	v_mfma_f32_16x16x32_fp8_fp8 v[96:99], a[94:95], v[42:43], v[96:99]// 0000000085CC: D3F30060 0D82555E
	s_waitcnt lgkmcnt(3)                                       // 0000000085D4: BF8CC37F
	v_mfma_f32_16x16x32_fp8_fp8 v[100:103], a[64:65], v[44:45], 0// 0000000085D8: D3F30064 0A025940
	v_mfma_f32_16x16x32_fp8_fp8 v[104:107], a[80:81], v[44:45], 0// 0000000085E0: D3F30068 0A025950
	v_mfma_f32_16x16x32_fp8_fp8 v[100:103], a[66:67], v[46:47], v[100:103]// 0000000085E8: D3F30064 0D925D42
	buffer_load_dwordx4 a[112:115], v204, s[16:19], 0 offen offset:1024// 0000000085F0: E05C1400 808470CC
	v_mfma_f32_16x16x32_fp8_fp8 v[104:107], a[82:83], v[46:47], v[104:107]// 0000000085F8: D3F30068 0DA25D52
	s_waitcnt lgkmcnt(2)                                       // 000000008600: BF8CC27F
	v_mfma_f32_16x16x32_fp8_fp8 v[100:103], a[68:69], v[48:49], v[100:103]// 000000008604: D3F30064 0D926144
	v_mfma_f32_16x16x32_fp8_fp8 v[104:107], a[84:85], v[48:49], v[104:107]// 00000000860C: D3F30068 0DA26154
	v_mfma_f32_16x16x32_fp8_fp8 v[100:103], a[70:71], v[50:51], v[100:103]// 000000008614: D3F30064 0D926546
	buffer_load_dwordx4 a[116:119], v205, s[16:19], 0 offen offset:1024// 00000000861C: E05C1400 808474CD
	v_mfma_f32_16x16x32_fp8_fp8 v[104:107], a[86:87], v[50:51], v[104:107]// 000000008624: D3F30068 0DA26556
	s_waitcnt lgkmcnt(1)                                       // 00000000862C: BF8CC17F
	v_mfma_f32_16x16x32_fp8_fp8 v[100:103], a[72:73], v[52:53], v[100:103]// 000000008630: D3F30064 0D926948
	v_mfma_f32_16x16x32_fp8_fp8 v[104:107], a[88:89], v[52:53], v[104:107]// 000000008638: D3F30068 0DA26958
	v_mfma_f32_16x16x32_fp8_fp8 v[100:103], a[74:75], v[54:55], v[100:103]// 000000008640: D3F30064 0D926D4A
	buffer_load_dwordx4 a[120:123], v206, s[16:19], 0 offen offset:1024// 000000008648: E05C1400 808478CE
	v_mfma_f32_16x16x32_fp8_fp8 v[104:107], a[90:91], v[54:55], v[104:107]// 000000008650: D3F30068 0DA26D5A
	s_waitcnt lgkmcnt(0)                                       // 000000008658: BF8CC07F
	v_mfma_f32_16x16x32_fp8_fp8 v[100:103], a[76:77], v[56:57], v[100:103]// 00000000865C: D3F30064 0D92714C
	v_mfma_f32_16x16x32_fp8_fp8 v[104:107], a[92:93], v[56:57], v[104:107]// 000000008664: D3F30068 0DA2715C
	v_mfma_f32_16x16x32_fp8_fp8 v[100:103], a[78:79], v[58:59], v[100:103]// 00000000866C: D3F30064 0D92754E
	buffer_load_dwordx4 a[124:127], v207, s[16:19], 0 offen offset:1024// 000000008674: E05C1400 80847CCF
	v_mfma_f32_16x16x32_fp8_fp8 v[104:107], a[94:95], v[58:59], v[104:107]// 00000000867C: D3F30068 0DA2755E
	s_addk_i32 s64, 0x100                                      // 000000008684: B7400100
	s_cmp_lt_i32 s64, s63                                      // 000000008688: BF043F40
	s_cbranch_scc0 label_2BB4                                  // 00000000868C: BF841390
	s_waitcnt vmcnt(10)                                        // 000000008690: BF8C0F7A
	v_mfma_f32_16x16x32_fp8_fp8 v[28:31], a[32:33], v[12:13], 0// 000000008694: D3F3001C 0A021920
	s_add_u32 s12, s86, s69                                    // 00000000869C: 800C4556
	s_addc_u32 s13, s87, 0                                     // 0000000086A0: 820D8057
	v_mfma_f32_16x16x32_fp8_fp8 v[28:31], a[34:35], v[14:15], v[28:31]// 0000000086A4: D3F3001C 0C721D22
	s_add_u32 s16, s88, s70                                    // 0000000086AC: 80104658
	s_addc_u32 s17, s89, 0                                     // 0000000086B0: 82118059
	v_mfma_f32_16x16x32_fp8_fp8 v[28:31], a[36:37], v[16:17], v[28:31]// 0000000086B4: D3F3001C 0C722124
	buffer_load_dwordx4 a[0:3], v202, s[12:15], 0 offen        // 0000000086BC: E05C1000 808300CA
	v_mfma_f32_16x16x32_fp8_fp8 v[28:31], a[38:39], v[18:19], v[28:31]// 0000000086C4: D3F3001C 0C722526
	s_add_u32 s20, s90, s71                                    // 0000000086CC: 8014475A
	s_addc_u32 s21, s91, 0                                     // 0000000086D0: 8215805B
	v_mfma_f32_16x16x32_fp8_fp8 v[32:35], a[40:41], v[12:13], 0// 0000000086D4: D3F30020 0A021928
	s_add_u32 s24, s92, s71                                    // 0000000086DC: 8018475C
	s_addc_u32 s25, s93, 0                                     // 0000000086E0: 8219805D
	v_mfma_f32_16x16x32_fp8_fp8 v[32:35], a[42:43], v[14:15], v[32:35]// 0000000086E4: D3F30020 0C821D2A
	s_add_u32 s69, s69, 0x1000                                 // 0000000086EC: 8045FF45 00001000
	s_add_u32 s70, s70, 0x8000                                 // 0000000086F4: 8046FF46 00008000
	v_mfma_f32_16x16x32_fp8_fp8 v[32:35], a[44:45], v[16:17], v[32:35]// 0000000086FC: D3F30020 0C82212C
	buffer_load_dwordx4 a[4:7], v203, s[12:15], 0 offen        // 000000008704: E05C1000 808304CB
	v_mfma_f32_16x16x32_fp8_fp8 v[32:35], a[46:47], v[18:19], v[32:35]// 00000000870C: D3F30020 0C82252E
	v_mfma_f32_16x16x32_fp8_fp8 v[36:39], a[48:49], v[12:13], 0// 000000008714: D3F30024 0A021930
	v_mfma_f32_16x16x32_fp8_fp8 v[36:39], a[50:51], v[14:15], v[36:39]// 00000000871C: D3F30024 0C921D32
	v_mfma_f32_16x16x32_fp8_fp8 v[36:39], a[52:53], v[16:17], v[36:39]// 000000008724: D3F30024 0C922134
	buffer_load_dwordx4 a[8:11], v202, s[12:15], 0 offen offset:1024// 00000000872C: E05C1400 808308CA
	v_mfma_f32_16x16x32_fp8_fp8 v[36:39], a[54:55], v[18:19], v[36:39]// 000000008734: D3F30024 0C922536
	v_mfma_f32_16x16x32_fp8_fp8 v[40:43], a[56:57], v[12:13], 0// 00000000873C: D3F30028 0A021938
	v_mfma_f32_16x16x32_fp8_fp8 v[40:43], a[58:59], v[14:15], v[40:43]// 000000008744: D3F30028 0CA21D3A
	v_mfma_f32_16x16x32_fp8_fp8 v[40:43], a[60:61], v[16:17], v[40:43]// 00000000874C: D3F30028 0CA2213C
	buffer_load_dwordx4 a[12:15], v203, s[12:15], 0 offen offset:1024// 000000008754: E05C1400 80830CCB
	v_mfma_f32_16x16x32_fp8_fp8 v[40:43], a[62:63], v[18:19], v[40:43]// 00000000875C: D3F30028 0CA2253E
	v_mfma_f32_16x16x32_fp8_fp8 v[44:47], a[32:33], v[20:21], 0// 000000008764: D3F3002C 0A022920
	v_mfma_f32_16x16x32_fp8_fp8 v[44:47], a[34:35], v[22:23], v[44:47]// 00000000876C: D3F3002C 0CB22D22
	v_mfma_f32_16x16x32_fp8_fp8 v[44:47], a[36:37], v[24:25], v[44:47]// 000000008774: D3F3002C 0CB23124
	buffer_load_dwordx4 a[16:19], v202, s[12:15], 0 offen offset:2048// 00000000877C: E05C1800 808310CA
	v_mfma_f32_16x16x32_fp8_fp8 v[44:47], a[38:39], v[26:27], v[44:47]// 000000008784: D3F3002C 0CB23526
	v_mfma_f32_16x16x32_fp8_fp8 v[48:51], a[40:41], v[20:21], 0// 00000000878C: D3F30030 0A022928
	v_mfma_f32_16x16x32_fp8_fp8 v[48:51], a[42:43], v[22:23], v[48:51]// 000000008794: D3F30030 0CC22D2A
	v_mfma_f32_16x16x32_fp8_fp8 v[48:51], a[44:45], v[24:25], v[48:51]// 00000000879C: D3F30030 0CC2312C
	buffer_load_dwordx4 a[20:23], v203, s[12:15], 0 offen offset:2048// 0000000087A4: E05C1800 808314CB
	v_mfma_f32_16x16x32_fp8_fp8 v[48:51], a[46:47], v[26:27], v[48:51]// 0000000087AC: D3F30030 0CC2352E
	v_mfma_f32_16x16x32_fp8_fp8 v[52:55], a[48:49], v[20:21], 0// 0000000087B4: D3F30034 0A022930
	v_mfma_f32_16x16x32_fp8_fp8 v[52:55], a[50:51], v[22:23], v[52:55]// 0000000087BC: D3F30034 0CD22D32
	v_mfma_f32_16x16x32_fp8_fp8 v[52:55], a[52:53], v[24:25], v[52:55]// 0000000087C4: D3F30034 0CD23134
	buffer_load_dwordx4 a[24:27], v202, s[12:15], 0 offen offset:3072// 0000000087CC: E05C1C00 808318CA
	v_mfma_f32_16x16x32_fp8_fp8 v[52:55], a[54:55], v[26:27], v[52:55]// 0000000087D4: D3F30034 0CD23536
	v_mfma_f32_16x16x32_fp8_fp8 v[56:59], a[56:57], v[20:21], 0// 0000000087DC: D3F30038 0A022938
	v_mfma_f32_16x16x32_fp8_fp8 v[56:59], a[58:59], v[22:23], v[56:59]// 0000000087E4: D3F30038 0CE22D3A
	v_mfma_f32_16x16x32_fp8_fp8 v[56:59], a[60:61], v[24:25], v[56:59]// 0000000087EC: D3F30038 0CE2313C
	buffer_load_dwordx4 a[28:31], v203, s[12:15], 0 offen offset:3072// 0000000087F4: E05C1C00 80831CCB
	v_mfma_f32_16x16x32_fp8_fp8 v[56:59], a[62:63], v[26:27], v[56:59]// 0000000087FC: D3F30038 0CE2353E
	s_waitcnt vmcnt(16)                                        // 000000008804: BF8C4F70
	v_pk_mul_f32 v[28:29], v[124:125], v[28:29]                // 000000008808: D3B1401C 1802397C
	v_pk_mul_f32 v[30:31], v[124:125], v[30:31]                // 000000008810: D3B1401E 18023D7C
	v_mul_f32_dpp v28, v129, v28 row_newbcast:0 row_mask:0xf bank_mask:0xf// 000000008818: 0A3838FA FF015081
	v_mul_f32_dpp v29, v129, v29 row_newbcast:1 row_mask:0xf bank_mask:0xf// 000000008820: 0A3A3AFA FF015181
	v_mul_f32_dpp v30, v129, v30 row_newbcast:2 row_mask:0xf bank_mask:0xf// 000000008828: 0A3C3CFA FF015281
	v_mul_f32_dpp v31, v129, v31 row_newbcast:3 row_mask:0xf bank_mask:0xf// 000000008830: 0A3E3EFA FF015381
	v_pk_mul_f32 v[32:33], v[124:125], v[32:33]                // 000000008838: D3B14020 1802417C
	v_pk_mul_f32 v[34:35], v[124:125], v[34:35]                // 000000008840: D3B14022 1802457C
	v_mul_f32_dpp v32, v129, v32 row_newbcast:4 row_mask:0xf bank_mask:0xf// 000000008848: 0A4040FA FF015481
	v_mul_f32_dpp v33, v129, v33 row_newbcast:5 row_mask:0xf bank_mask:0xf// 000000008850: 0A4242FA FF015581
	v_mul_f32_dpp v34, v129, v34 row_newbcast:6 row_mask:0xf bank_mask:0xf// 000000008858: 0A4444FA FF015681
	v_mul_f32_dpp v35, v129, v35 row_newbcast:7 row_mask:0xf bank_mask:0xf// 000000008860: 0A4646FA FF015781
	v_pk_mul_f32 v[36:37], v[124:125], v[36:37]                // 000000008868: D3B14024 1802497C
	v_pk_mul_f32 v[38:39], v[124:125], v[38:39]                // 000000008870: D3B14026 18024D7C
	v_mul_f32_dpp v36, v129, v36 row_newbcast:8 row_mask:0xf bank_mask:0xf// 000000008878: 0A4848FA FF015881
	v_mul_f32_dpp v37, v129, v37 row_newbcast:9 row_mask:0xf bank_mask:0xf// 000000008880: 0A4A4AFA FF015981
	v_mul_f32_dpp v38, v129, v38 row_newbcast:10 row_mask:0xf bank_mask:0xf// 000000008888: 0A4C4CFA FF015A81
	v_mul_f32_dpp v39, v129, v39 row_newbcast:11 row_mask:0xf bank_mask:0xf// 000000008890: 0A4E4EFA FF015B81
	v_pk_mul_f32 v[40:41], v[124:125], v[40:41]                // 000000008898: D3B14028 1802517C
	v_pk_mul_f32 v[42:43], v[124:125], v[42:43]                // 0000000088A0: D3B1402A 1802557C
	v_mul_f32_dpp v40, v129, v40 row_newbcast:12 row_mask:0xf bank_mask:0xf// 0000000088A8: 0A5050FA FF015C81
	v_mul_f32_dpp v41, v129, v41 row_newbcast:13 row_mask:0xf bank_mask:0xf// 0000000088B0: 0A5252FA FF015D81
	v_mul_f32_dpp v42, v129, v42 row_newbcast:14 row_mask:0xf bank_mask:0xf// 0000000088B8: 0A5454FA FF015E81
	v_mul_f32_dpp v43, v129, v43 row_newbcast:15 row_mask:0xf bank_mask:0xf// 0000000088C0: 0A5656FA FF015F81
	v_pk_mul_f32 v[44:45], v[126:127], v[44:45]                // 0000000088C8: D3B1402C 1802597E
	v_pk_mul_f32 v[46:47], v[126:127], v[46:47]                // 0000000088D0: D3B1402E 18025D7E
	v_mul_f32_dpp v44, v129, v44 row_newbcast:0 row_mask:0xf bank_mask:0xf// 0000000088D8: 0A5858FA FF015081
	v_mul_f32_dpp v45, v129, v45 row_newbcast:1 row_mask:0xf bank_mask:0xf// 0000000088E0: 0A5A5AFA FF015181
	v_mul_f32_dpp v46, v129, v46 row_newbcast:2 row_mask:0xf bank_mask:0xf// 0000000088E8: 0A5C5CFA FF015281
	v_mul_f32_dpp v47, v129, v47 row_newbcast:3 row_mask:0xf bank_mask:0xf// 0000000088F0: 0A5E5EFA FF015381
	v_pk_mul_f32 v[48:49], v[126:127], v[48:49]                // 0000000088F8: D3B14030 1802617E
	v_pk_mul_f32 v[50:51], v[126:127], v[50:51]                // 000000008900: D3B14032 1802657E
	v_mul_f32_dpp v48, v129, v48 row_newbcast:4 row_mask:0xf bank_mask:0xf// 000000008908: 0A6060FA FF015481
	v_mul_f32_dpp v49, v129, v49 row_newbcast:5 row_mask:0xf bank_mask:0xf// 000000008910: 0A6262FA FF015581
	v_mul_f32_dpp v50, v129, v50 row_newbcast:6 row_mask:0xf bank_mask:0xf// 000000008918: 0A6464FA FF015681
	v_mul_f32_dpp v51, v129, v51 row_newbcast:7 row_mask:0xf bank_mask:0xf// 000000008920: 0A6666FA FF015781
	v_pk_mul_f32 v[52:53], v[126:127], v[52:53]                // 000000008928: D3B14034 1802697E
	v_pk_mul_f32 v[54:55], v[126:127], v[54:55]                // 000000008930: D3B14036 18026D7E
	v_mul_f32_dpp v52, v129, v52 row_newbcast:8 row_mask:0xf bank_mask:0xf// 000000008938: 0A6868FA FF015881
	v_mul_f32_dpp v53, v129, v53 row_newbcast:9 row_mask:0xf bank_mask:0xf// 000000008940: 0A6A6AFA FF015981
	v_mul_f32_dpp v54, v129, v54 row_newbcast:10 row_mask:0xf bank_mask:0xf// 000000008948: 0A6C6CFA FF015A81
	v_mul_f32_dpp v55, v129, v55 row_newbcast:11 row_mask:0xf bank_mask:0xf// 000000008950: 0A6E6EFA FF015B81
	v_pk_mul_f32 v[56:57], v[126:127], v[56:57]                // 000000008958: D3B14038 1802717E
	v_pk_mul_f32 v[58:59], v[126:127], v[58:59]                // 000000008960: D3B1403A 1802757E
	v_mul_f32_dpp v56, v129, v56 row_newbcast:12 row_mask:0xf bank_mask:0xf// 000000008968: 0A7070FA FF015C81
	v_mul_f32_dpp v57, v129, v57 row_newbcast:13 row_mask:0xf bank_mask:0xf// 000000008970: 0A7272FA FF015D81
	v_mul_f32_dpp v58, v129, v58 row_newbcast:14 row_mask:0xf bank_mask:0xf// 000000008978: 0A7474FA FF015E81
	v_mul_f32_dpp v59, v129, v59 row_newbcast:15 row_mask:0xf bank_mask:0xf// 000000008980: 0A7676FA FF015F81
	v_mov_b32_e32 v150, v28                                    // 000000008988: 7F2C031C
	v_max3_f32 v150, v28, v29, v150                            // 00000000898C: D1D30096 065A3B1C
	v_max3_f32 v150, v30, v31, v150                            // 000000008994: D1D30096 065A3F1E
	v_max3_f32 v150, v32, v33, v150                            // 00000000899C: D1D30096 065A4320
	v_max3_f32 v150, v34, v35, v150                            // 0000000089A4: D1D30096 065A4722
	v_max3_f32 v150, v36, v37, v150                            // 0000000089AC: D1D30096 065A4B24
	v_max3_f32 v150, v38, v39, v150                            // 0000000089B4: D1D30096 065A4F26
	v_max3_f32 v150, v40, v41, v150                            // 0000000089BC: D1D30096 065A5328
	v_max3_f32 v150, v42, v43, v150                            // 0000000089C4: D1D30096 065A572A
	v_mov_b32_e32 v151, v44                                    // 0000000089CC: 7F2E032C
	v_max3_f32 v151, v44, v45, v151                            // 0000000089D0: D1D30097 065E5B2C
	v_max3_f32 v151, v46, v47, v151                            // 0000000089D8: D1D30097 065E5F2E
	v_max3_f32 v151, v48, v49, v151                            // 0000000089E0: D1D30097 065E6330
	v_max3_f32 v151, v50, v51, v151                            // 0000000089E8: D1D30097 065E6732
	v_max3_f32 v151, v52, v53, v151                            // 0000000089F0: D1D30097 065E6B34
	v_max3_f32 v151, v54, v55, v151                            // 0000000089F8: D1D30097 065E6F36
	v_max3_f32 v151, v56, v57, v151                            // 000000008A00: D1D30097 065E7338
	v_max3_f32 v151, v58, v59, v151                            // 000000008A08: D1D30097 065E773A
	ds_write_b64 v220, v[150:151]                              // 000000008A10: D89A0000 000096DC
	v_pk_mul_f32 v[108:109], v[142:143], v[108:109]            // 000000008A18: D3B1406C 1802D98E
	v_pk_mul_f32 v[110:111], v[142:143], v[110:111]            // 000000008A20: D3B1406E 1802DD8E
	v_pk_mul_f32 v[112:113], v[142:143], v[112:113]            // 000000008A28: D3B14070 1802E18E
	v_pk_mul_f32 v[114:115], v[142:143], v[114:115]            // 000000008A30: D3B14072 1802E58E
	v_pk_mul_f32 v[116:117], v[144:145], v[116:117]            // 000000008A38: D3B14074 1802E990
	v_pk_mul_f32 v[118:119], v[144:145], v[118:119]            // 000000008A40: D3B14076 1802ED90
	v_pk_mul_f32 v[120:121], v[144:145], v[120:121]            // 000000008A48: D3B14078 1802F190
	v_pk_mul_f32 v[122:123], v[144:145], v[122:123]            // 000000008A50: D3B1407A 1802F590
	s_waitcnt lgkmcnt(0)                                       // 000000008A58: BF8CC07F
	s_barrier                                                  // 000000008A5C: BF8A0000
	v_pk_mul_f32 v[92:93], v[132:133], v[92:93]                // 000000008A60: D3B1405C 1802B984
	v_pk_mul_f32 v[94:95], v[132:133], v[94:95]                // 000000008A68: D3B1405E 1802BD84
	v_pk_mul_f32 v[96:97], v[132:133], v[96:97]                // 000000008A70: D3B14060 1802C184
	v_pk_mul_f32 v[98:99], v[132:133], v[98:99]                // 000000008A78: D3B14062 1802C584
	v_pk_mul_f32 v[100:101], v[134:135], v[100:101]            // 000000008A80: D3B14064 1802C986
	v_pk_mul_f32 v[102:103], v[134:135], v[102:103]            // 000000008A88: D3B14066 1802CD86
	v_pk_mul_f32 v[104:105], v[134:135], v[104:105]            // 000000008A90: D3B14068 1802D186
	v_pk_mul_f32 v[106:107], v[134:135], v[106:107]            // 000000008A98: D3B1406A 1802D586
	ds_read_b64 v[154:155], v221                               // 000000008AA0: D8EC0000 9A0000DD
	ds_read_b64 v[156:157], v221 offset:128                    // 000000008AA8: D8EC0080 9C0000DD
	ds_read_b64 v[158:159], v221 offset:256                    // 000000008AB0: D8EC0100 9E0000DD
	ds_read_b64 v[160:161], v221 offset:384                    // 000000008AB8: D8EC0180 A00000DD
	ds_read_b64 v[162:163], v221 offset:512                    // 000000008AC0: D8EC0200 A20000DD
	ds_read_b64 v[164:165], v221 offset:640                    // 000000008AC8: D8EC0280 A40000DD
	ds_read_b64 v[166:167], v221 offset:768                    // 000000008AD0: D8EC0300 A60000DD
	ds_read_b64 v[168:169], v221 offset:896                    // 000000008AD8: D8EC0380 A80000DD
	ds_read_b64 v[170:171], v221 offset:1024                   // 000000008AE0: D8EC0400 AA0000DD
	ds_read_b64 v[172:173], v221 offset:1152                   // 000000008AE8: D8EC0480 AC0000DD
	ds_read_b64 v[174:175], v221 offset:1280                   // 000000008AF0: D8EC0500 AE0000DD
	ds_read_b64 v[176:177], v221 offset:1408                   // 000000008AF8: D8EC0580 B00000DD
	ds_read_b64 v[178:179], v221 offset:1536                   // 000000008B00: D8EC0600 B20000DD
	ds_read_b64 v[180:181], v221 offset:1664                   // 000000008B08: D8EC0680 B40000DD
	ds_read_b64 v[182:183], v221 offset:1792                   // 000000008B10: D8EC0700 B60000DD
	ds_read_b64 v[184:185], v221 offset:1920                   // 000000008B18: D8EC0780 B80000DD
	s_waitcnt lgkmcnt(0)                                       // 000000008B20: BF8CC07F
	v_max3_f32 v150, v154, v156, v150                          // 000000008B24: D1D30096 065B399A
	v_max3_f32 v151, v155, v157, v151                          // 000000008B2C: D1D30097 065F3B9B
	v_max3_f32 v150, v158, v160, v150                          // 000000008B34: D1D30096 065B419E
	v_max3_f32 v151, v159, v161, v151                          // 000000008B3C: D1D30097 065F439F
	v_max3_f32 v150, v162, v164, v150                          // 000000008B44: D1D30096 065B49A2
	v_max3_f32 v151, v163, v165, v151                          // 000000008B4C: D1D30097 065F4BA3
	v_max3_f32 v150, v166, v168, v150                          // 000000008B54: D1D30096 065B51A6
	v_max3_f32 v151, v167, v169, v151                          // 000000008B5C: D1D30097 065F53A7
	v_max3_f32 v150, v170, v172, v150                          // 000000008B64: D1D30096 065B59AA
	v_max3_f32 v151, v171, v173, v151                          // 000000008B6C: D1D30097 065F5BAB
	v_max3_f32 v150, v174, v176, v150                          // 000000008B74: D1D30096 065B61AE
	v_max3_f32 v151, v175, v177, v151                          // 000000008B7C: D1D30097 065F63AF
	v_max3_f32 v150, v178, v180, v150                          // 000000008B84: D1D30096 065B69B2
	v_max3_f32 v151, v179, v181, v151                          // 000000008B8C: D1D30097 065F6BB3
	v_max3_f32 v150, v182, v184, v150                          // 000000008B94: D1D30096 065B71B6
	v_max3_f32 v151, v183, v185, v151                          // 000000008B9C: D1D30097 065F73B7
	v_max_f32_e32 v140, v150, v138                             // 000000008BA4: 17191596
	v_mul_f32_e64 v186, -s46, v140                             // 000000008BA8: D10500BA 2003182E
	v_mov_b32_e32 v187, v186                                   // 000000008BB0: 7F7603BA
	v_pk_fma_f32 v[28:29], v[28:29], s[46:47], v[186:187]      // 000000008BB4: D3B0401C 1EE85D1C
	v_pk_fma_f32 v[30:31], v[30:31], s[46:47], v[186:187]      // 000000008BBC: D3B0401E 1EE85D1E
	v_exp_f32_e32 v28, v28                                     // 000000008BC4: 7E38411C
	v_exp_f32_e32 v29, v29                                     // 000000008BC8: 7E3A411D
	v_exp_f32_e32 v30, v30                                     // 000000008BCC: 7E3C411E
	v_exp_f32_e32 v31, v31                                     // 000000008BD0: 7E3E411F
	v_pk_fma_f32 v[32:33], v[32:33], s[46:47], v[186:187]      // 000000008BD4: D3B04020 1EE85D20
	v_pk_fma_f32 v[34:35], v[34:35], s[46:47], v[186:187]      // 000000008BDC: D3B04022 1EE85D22
	v_exp_f32_e32 v32, v32                                     // 000000008BE4: 7E404120
	v_exp_f32_e32 v33, v33                                     // 000000008BE8: 7E424121
	v_exp_f32_e32 v34, v34                                     // 000000008BEC: 7E444122
	v_exp_f32_e32 v35, v35                                     // 000000008BF0: 7E464123
	v_pk_fma_f32 v[36:37], v[36:37], s[46:47], v[186:187]      // 000000008BF4: D3B04024 1EE85D24
	v_pk_fma_f32 v[38:39], v[38:39], s[46:47], v[186:187]      // 000000008BFC: D3B04026 1EE85D26
	v_exp_f32_e32 v36, v36                                     // 000000008C04: 7E484124
	v_exp_f32_e32 v37, v37                                     // 000000008C08: 7E4A4125
	v_exp_f32_e32 v38, v38                                     // 000000008C0C: 7E4C4126
	v_exp_f32_e32 v39, v39                                     // 000000008C10: 7E4E4127
	v_pk_fma_f32 v[40:41], v[40:41], s[46:47], v[186:187]      // 000000008C14: D3B04028 1EE85D28
	v_pk_fma_f32 v[42:43], v[42:43], s[46:47], v[186:187]      // 000000008C1C: D3B0402A 1EE85D2A
	v_exp_f32_e32 v40, v40                                     // 000000008C24: 7E504128
	v_exp_f32_e32 v41, v41                                     // 000000008C28: 7E524129
	v_exp_f32_e32 v42, v42                                     // 000000008C2C: 7E54412A
	v_exp_f32_e32 v43, v43                                     // 000000008C30: 7E56412B
	v_max_f32_e32 v141, v151, v139                             // 000000008C34: 171B1797
	v_mul_f32_e64 v186, -s46, v141                             // 000000008C38: D10500BA 20031A2E
	v_mov_b32_e32 v187, v186                                   // 000000008C40: 7F7603BA
	v_pk_fma_f32 v[44:45], v[44:45], s[46:47], v[186:187]      // 000000008C44: D3B0402C 1EE85D2C
	v_pk_fma_f32 v[46:47], v[46:47], s[46:47], v[186:187]      // 000000008C4C: D3B0402E 1EE85D2E
	v_exp_f32_e32 v44, v44                                     // 000000008C54: 7E58412C
	v_exp_f32_e32 v45, v45                                     // 000000008C58: 7E5A412D
	v_exp_f32_e32 v46, v46                                     // 000000008C5C: 7E5C412E
	v_exp_f32_e32 v47, v47                                     // 000000008C60: 7E5E412F
	v_pk_fma_f32 v[48:49], v[48:49], s[46:47], v[186:187]      // 000000008C64: D3B04030 1EE85D30
	v_pk_fma_f32 v[50:51], v[50:51], s[46:47], v[186:187]      // 000000008C6C: D3B04032 1EE85D32
	v_exp_f32_e32 v48, v48                                     // 000000008C74: 7E604130
	v_exp_f32_e32 v49, v49                                     // 000000008C78: 7E624131
	v_exp_f32_e32 v50, v50                                     // 000000008C7C: 7E644132
	v_exp_f32_e32 v51, v51                                     // 000000008C80: 7E664133
	v_pk_fma_f32 v[52:53], v[52:53], s[46:47], v[186:187]      // 000000008C84: D3B04034 1EE85D34
	v_pk_fma_f32 v[54:55], v[54:55], s[46:47], v[186:187]      // 000000008C8C: D3B04036 1EE85D36
	v_exp_f32_e32 v52, v52                                     // 000000008C94: 7E684134
	v_exp_f32_e32 v53, v53                                     // 000000008C98: 7E6A4135
	v_exp_f32_e32 v54, v54                                     // 000000008C9C: 7E6C4136
	v_exp_f32_e32 v55, v55                                     // 000000008CA0: 7E6E4137
	v_pk_fma_f32 v[56:57], v[56:57], s[46:47], v[186:187]      // 000000008CA4: D3B04038 1EE85D38
	v_pk_fma_f32 v[58:59], v[58:59], s[46:47], v[186:187]      // 000000008CAC: D3B0403A 1EE85D3A
	v_exp_f32_e32 v56, v56                                     // 000000008CB4: 7E704138
	v_exp_f32_e32 v57, v57                                     // 000000008CB8: 7E724139
	v_exp_f32_e32 v58, v58                                     // 000000008CBC: 7E74413A
	v_exp_f32_e32 v59, v59                                     // 000000008CC0: 7E76413B
	v_mul_f32_dpp v60, v131, v28 row_newbcast:0 row_mask:0xf bank_mask:0xf// 000000008CC4: 0A7838FA FF015083
	v_mul_f32_dpp v61, v131, v29 row_newbcast:1 row_mask:0xf bank_mask:0xf// 000000008CCC: 0A7A3AFA FF015183
	v_mul_f32_dpp v62, v131, v30 row_newbcast:2 row_mask:0xf bank_mask:0xf// 000000008CD4: 0A7C3CFA FF015283
	v_mul_f32_dpp v63, v131, v31 row_newbcast:3 row_mask:0xf bank_mask:0xf// 000000008CDC: 0A7E3EFA FF015383
	v_mul_f32_dpp v64, v131, v32 row_newbcast:4 row_mask:0xf bank_mask:0xf// 000000008CE4: 0A8040FA FF015483
	v_mul_f32_dpp v65, v131, v33 row_newbcast:5 row_mask:0xf bank_mask:0xf// 000000008CEC: 0A8242FA FF015583
	v_mul_f32_dpp v66, v131, v34 row_newbcast:6 row_mask:0xf bank_mask:0xf// 000000008CF4: 0A8444FA FF015683
	v_mul_f32_dpp v67, v131, v35 row_newbcast:7 row_mask:0xf bank_mask:0xf// 000000008CFC: 0A8646FA FF015783
	v_mul_f32_dpp v68, v131, v36 row_newbcast:8 row_mask:0xf bank_mask:0xf// 000000008D04: 0A8848FA FF015883
	v_mul_f32_dpp v69, v131, v37 row_newbcast:9 row_mask:0xf bank_mask:0xf// 000000008D0C: 0A8A4AFA FF015983
	v_mul_f32_dpp v70, v131, v38 row_newbcast:10 row_mask:0xf bank_mask:0xf// 000000008D14: 0A8C4CFA FF015A83
	v_mul_f32_dpp v71, v131, v39 row_newbcast:11 row_mask:0xf bank_mask:0xf// 000000008D1C: 0A8E4EFA FF015B83
	v_mul_f32_dpp v72, v131, v40 row_newbcast:12 row_mask:0xf bank_mask:0xf// 000000008D24: 0A9050FA FF015C83
	v_mul_f32_dpp v73, v131, v41 row_newbcast:13 row_mask:0xf bank_mask:0xf// 000000008D2C: 0A9252FA FF015D83
	v_mul_f32_dpp v74, v131, v42 row_newbcast:14 row_mask:0xf bank_mask:0xf// 000000008D34: 0A9454FA FF015E83
	v_mul_f32_dpp v75, v131, v43 row_newbcast:15 row_mask:0xf bank_mask:0xf// 000000008D3C: 0A9656FA FF015F83
	v_mul_f32_dpp v76, v131, v44 row_newbcast:0 row_mask:0xf bank_mask:0xf// 000000008D44: 0A9858FA FF015083
	v_mul_f32_dpp v77, v131, v45 row_newbcast:1 row_mask:0xf bank_mask:0xf// 000000008D4C: 0A9A5AFA FF015183
	v_mul_f32_dpp v78, v131, v46 row_newbcast:2 row_mask:0xf bank_mask:0xf// 000000008D54: 0A9C5CFA FF015283
	v_mul_f32_dpp v79, v131, v47 row_newbcast:3 row_mask:0xf bank_mask:0xf// 000000008D5C: 0A9E5EFA FF015383
	v_mul_f32_dpp v80, v131, v48 row_newbcast:4 row_mask:0xf bank_mask:0xf// 000000008D64: 0AA060FA FF015483
	v_mul_f32_dpp v81, v131, v49 row_newbcast:5 row_mask:0xf bank_mask:0xf// 000000008D6C: 0AA262FA FF015583
	v_mul_f32_dpp v82, v131, v50 row_newbcast:6 row_mask:0xf bank_mask:0xf// 000000008D74: 0AA464FA FF015683
	v_mul_f32_dpp v83, v131, v51 row_newbcast:7 row_mask:0xf bank_mask:0xf// 000000008D7C: 0AA666FA FF015783
	v_mul_f32_dpp v84, v131, v52 row_newbcast:8 row_mask:0xf bank_mask:0xf// 000000008D84: 0AA868FA FF015883
	v_mul_f32_dpp v85, v131, v53 row_newbcast:9 row_mask:0xf bank_mask:0xf// 000000008D8C: 0AAA6AFA FF015983
	v_mul_f32_dpp v86, v131, v54 row_newbcast:10 row_mask:0xf bank_mask:0xf// 000000008D94: 0AAC6CFA FF015A83
	v_mul_f32_dpp v87, v131, v55 row_newbcast:11 row_mask:0xf bank_mask:0xf// 000000008D9C: 0AAE6EFA FF015B83
	v_mul_f32_dpp v88, v131, v56 row_newbcast:12 row_mask:0xf bank_mask:0xf// 000000008DA4: 0AB070FA FF015C83
	v_mul_f32_dpp v89, v131, v57 row_newbcast:13 row_mask:0xf bank_mask:0xf// 000000008DAC: 0AB272FA FF015D83
	v_mul_f32_dpp v90, v131, v58 row_newbcast:14 row_mask:0xf bank_mask:0xf// 000000008DB4: 0AB474FA FF015E83
	v_mul_f32_dpp v91, v131, v59 row_newbcast:15 row_mask:0xf bank_mask:0xf// 000000008DBC: 0AB676FA FF015F83
	buffer_load_dword v128, v208, s[20:23], 0 offen            // 000000008DC4: E0501000 800580D0
	v_sub_f32_e32 v142, v138, v140                             // 000000008DCC: 051D198A
	v_cmp_eq_u32_e64 s[98:99], v197, v138                      // 000000008DD0: D0CA0062 000315C5
	v_cndmask_b32_e64 v142, v142, 0, s[98:99]                  // 000000008DD8: D100008E 0189018E
	v_mov_b32_e32 v138, v140                                   // 000000008DE0: 7F14038C
	v_mul_f32_e32 v142, s46, v142                              // 000000008DE4: 0B1D1C2E
	v_exp_f32_e32 v142, v142                                   // 000000008DE8: 7F1C418E
	v_sub_f32_e32 v144, v139, v141                             // 000000008DEC: 05211B8B
	v_cmp_eq_u32_e64 s[98:99], v197, v139                      // 000000008DF0: D0CA0062 000317C5
	v_cndmask_b32_e64 v144, v144, 0, s[98:99]                  // 000000008DF8: D1000090 01890190
	v_mov_b32_e32 v139, v141                                   // 000000008E00: 7F16038D
	v_mul_f32_e32 v144, s46, v144                              // 000000008E04: 0B21202E
	v_exp_f32_e32 v144, v144                                   // 000000008E08: 7F204190
	v_mov_b32_e32 v143, v142                                   // 000000008E0C: 7F1E038E
	v_mov_b32_e32 v145, v144                                   // 000000008E10: 7F220390
	buffer_load_dword v130, v209, s[24:27], 0 offen            // 000000008E14: E0501000 800682D1
	s_waitcnt lgkmcnt(0)                                       // 000000008E1C: BF8CC07F
	s_barrier                                                  // 000000008E20: BF8A0000
	v_mul_f32_e32 v146, v142, v146                             // 000000008E24: 0B25258E
	v_mov_b32_e32 v147, 0                                      // 000000008E28: 7F260280
	v_pk_add_f32 v[146:147], v[28:29], v[146:147]              // 000000008E2C: D3B24092 1803251C
	v_pk_add_f32 v[146:147], v[30:31], v[146:147]              // 000000008E34: D3B24092 1803251E
	v_pk_add_f32 v[146:147], v[32:33], v[146:147]              // 000000008E3C: D3B24092 18032520
	v_pk_add_f32 v[146:147], v[34:35], v[146:147]              // 000000008E44: D3B24092 18032522
	v_pk_add_f32 v[146:147], v[36:37], v[146:147]              // 000000008E4C: D3B24092 18032524
	v_pk_add_f32 v[146:147], v[38:39], v[146:147]              // 000000008E54: D3B24092 18032526
	v_pk_add_f32 v[146:147], v[40:41], v[146:147]              // 000000008E5C: D3B24092 18032528
	v_pk_add_f32 v[146:147], v[42:43], v[146:147]              // 000000008E64: D3B24092 1803252A
	v_add_f32_e32 v146, v147, v146                             // 000000008E6C: 03252593
	v_mul_f32_e32 v148, v144, v148                             // 000000008E70: 0B292990
	v_mov_b32_e32 v149, 0                                      // 000000008E74: 7F2A0280
	v_pk_add_f32 v[148:149], v[44:45], v[148:149]              // 000000008E78: D3B24094 1803292C
	v_pk_add_f32 v[148:149], v[46:47], v[148:149]              // 000000008E80: D3B24094 1803292E
	v_pk_add_f32 v[148:149], v[48:49], v[148:149]              // 000000008E88: D3B24094 18032930
	v_pk_add_f32 v[148:149], v[50:51], v[148:149]              // 000000008E90: D3B24094 18032932
	v_pk_add_f32 v[148:149], v[52:53], v[148:149]              // 000000008E98: D3B24094 18032934
	v_pk_add_f32 v[148:149], v[54:55], v[148:149]              // 000000008EA0: D3B24094 18032936
	v_pk_add_f32 v[148:149], v[56:57], v[148:149]              // 000000008EA8: D3B24094 18032938
	v_pk_add_f32 v[148:149], v[58:59], v[148:149]              // 000000008EB0: D3B24094 1803293A
	v_add_f32_e32 v148, v149, v148                             // 000000008EB8: 03292995
	s_waitcnt lgkmcnt(0)                                       // 000000008EBC: BF8CC07F
	v_sub_f32_e32 v150, v150, v138                             // 000000008EC0: 052D1596
	v_sub_f32_e32 v151, v151, v139                             // 000000008EC4: 052F1797
	v_mul_f32_e32 v150, s46, v150                              // 000000008EC8: 0B2D2C2E
	v_mul_f32_e32 v151, s46, v151                              // 000000008ECC: 0B2F2E2E
	v_exp_f32_e32 v150, v150                                   // 000000008ED0: 7F2C4196
	v_exp_f32_e32 v151, v151                                   // 000000008ED4: 7F2E4197
	v_mul_f32_e32 v150, v131, v150                             // 000000008ED8: 0B2D2D83
	v_mul_f32_e32 v151, v131, v151                             // 000000008EDC: 0B2F2F83
	v_add_f32_e32 v150, 0x3089705f, v150                       // 000000008EE0: 032D2CFF 3089705F
	v_add_f32_e32 v151, 0x3089705f, v151                       // 000000008EE8: 032F2EFF 3089705F
	v_rcp_f32_e32 v150, v150                                   // 000000008EF0: 7F2C4596
	v_rcp_f32_e32 v151, v151                                   // 000000008EF4: 7F2E4597
	v_mul_f32_e32 v150, 0x43700000, v150                       // 000000008EF8: 0B2D2CFF 43700000
	v_mul_f32_e32 v151, 0x43700000, v151                       // 000000008F00: 0B2F2EFF 43700000
	v_mov_b32_e32 v152, v151                                   // 000000008F08: 7F300397
	v_mov_b32_e32 v153, v151                                   // 000000008F0C: 7F320397
	v_mov_b32_e32 v151, v150                                   // 000000008F10: 7F2E0396
	v_pk_mul_f32 v[28:29], v[150:151], v[60:61]                // 000000008F14: D3B1401C 18027996
	v_pk_mul_f32 v[30:31], v[150:151], v[62:63]                // 000000008F1C: D3B1401E 18027D96
	v_pk_mul_f32 v[32:33], v[150:151], v[64:65]                // 000000008F24: D3B14020 18028196
	v_pk_mul_f32 v[34:35], v[150:151], v[66:67]                // 000000008F2C: D3B14022 18028596
	v_pk_mul_f32 v[36:37], v[150:151], v[68:69]                // 000000008F34: D3B14024 18028996
	v_pk_mul_f32 v[38:39], v[150:151], v[70:71]                // 000000008F3C: D3B14026 18028D96
	v_pk_mul_f32 v[40:41], v[150:151], v[72:73]                // 000000008F44: D3B14028 18029196
	v_pk_mul_f32 v[42:43], v[150:151], v[74:75]                // 000000008F4C: D3B1402A 18029596
	v_pk_mul_f32 v[44:45], v[152:153], v[76:77]                // 000000008F54: D3B1402C 18029998
	v_pk_mul_f32 v[46:47], v[152:153], v[78:79]                // 000000008F5C: D3B1402E 18029D98
	v_pk_mul_f32 v[48:49], v[152:153], v[80:81]                // 000000008F64: D3B14030 1802A198
	v_pk_mul_f32 v[50:51], v[152:153], v[82:83]                // 000000008F6C: D3B14032 1802A598
	v_pk_mul_f32 v[52:53], v[152:153], v[84:85]                // 000000008F74: D3B14034 1802A998
	v_pk_mul_f32 v[54:55], v[152:153], v[86:87]                // 000000008F7C: D3B14036 1802AD98
	v_pk_mul_f32 v[56:57], v[152:153], v[88:89]                // 000000008F84: D3B14038 1802B198
	v_pk_mul_f32 v[58:59], v[152:153], v[90:91]                // 000000008F8C: D3B1403A 1802B598
	v_cvt_pk_fp8_f32 v28, v28, v29                             // 000000008F94: D2A2001C 00023B1C
	v_cvt_pk_fp8_f32 v28, v30, v31 op_sel:[0,0,1]              // 000000008F9C: D2A2401C 00023F1E
	v_cvt_pk_fp8_f32 v29, v32, v33                             // 000000008FA4: D2A2001D 00024320
	v_cvt_pk_fp8_f32 v29, v34, v35 op_sel:[0,0,1]              // 000000008FAC: D2A2401D 00024722
	v_cvt_pk_fp8_f32 v30, v36, v37                             // 000000008FB4: D2A2001E 00024B24
	v_cvt_pk_fp8_f32 v30, v38, v39 op_sel:[0,0,1]              // 000000008FBC: D2A2401E 00024F26
	v_cvt_pk_fp8_f32 v31, v40, v41                             // 000000008FC4: D2A2001F 00025328
	v_cvt_pk_fp8_f32 v31, v42, v43 op_sel:[0,0,1]              // 000000008FCC: D2A2401F 0002572A
	v_cvt_pk_fp8_f32 v32, v44, v45                             // 000000008FD4: D2A20020 00025B2C
	v_cvt_pk_fp8_f32 v32, v46, v47 op_sel:[0,0,1]              // 000000008FDC: D2A24020 00025F2E
	v_cvt_pk_fp8_f32 v33, v48, v49                             // 000000008FE4: D2A20021 00026330
	v_cvt_pk_fp8_f32 v33, v50, v51 op_sel:[0,0,1]              // 000000008FEC: D2A24021 00026732
	v_cvt_pk_fp8_f32 v34, v52, v53                             // 000000008FF4: D2A20022 00026B34
	v_cvt_pk_fp8_f32 v34, v54, v55 op_sel:[0,0,1]              // 000000008FFC: D2A24022 00026F36
	v_cvt_pk_fp8_f32 v35, v56, v57                             // 000000009004: D2A20023 00027338
	v_cvt_pk_fp8_f32 v35, v58, v59 op_sel:[0,0,1]              // 00000000900C: D2A24023 0002773A
	ds_write_b32 v222, v28 offset:4608                         // 000000009014: D81A1200 00001CDE
	ds_write_b32 v222, v29 offset:5632                         // 00000000901C: D81A1600 00001DDE
	ds_write_b32 v222, v30 offset:6656                         // 000000009024: D81A1A00 00001EDE
	ds_write_b32 v222, v31 offset:7680                         // 00000000902C: D81A1E00 00001FDE
	ds_write_b32 v222, v32 offset:8704                         // 000000009034: D81A2200 000020DE
	ds_write_b32 v222, v33 offset:9728                         // 00000000903C: D81A2600 000021DE
	ds_write_b32 v222, v34 offset:10752                        // 000000009044: D81A2A00 000022DE
	ds_write_b32 v222, v35 offset:11776                        // 00000000904C: D81A2E00 000023DE
	v_rcp_f32_e32 v132, v150                                   // 000000009054: 7F084596
	v_rcp_f32_e32 v134, v152                                   // 000000009058: 7F0C4598
	v_mov_b32_e32 v133, v132                                   // 00000000905C: 7F0A0384
	v_mov_b32_e32 v135, v134                                   // 000000009060: 7F0E0386
	v_pk_add_f32 v[108:109], v[108:109], v[92:93]              // 000000009064: D3B2406C 1802B96C
	v_pk_add_f32 v[110:111], v[110:111], v[94:95]              // 00000000906C: D3B2406E 1802BD6E
	v_pk_add_f32 v[112:113], v[112:113], v[96:97]              // 000000009074: D3B24070 1802C170
	v_pk_add_f32 v[114:115], v[114:115], v[98:99]              // 00000000907C: D3B24072 1802C572
	v_pk_add_f32 v[116:117], v[116:117], v[100:101]            // 000000009084: D3B24074 1802C974
	v_pk_add_f32 v[118:119], v[118:119], v[102:103]            // 00000000908C: D3B24076 1802CD76
	v_pk_add_f32 v[120:121], v[120:121], v[104:105]            // 000000009094: D3B24078 1802D178
	v_pk_add_f32 v[122:123], v[122:123], v[106:107]            // 00000000909C: D3B2407A 1802D57A
	s_waitcnt lgkmcnt(0)                                       // 0000000090A4: BF8CC07F
	s_barrier                                                  // 0000000090A8: BF8A0000
	ds_read_b128 v[28:31], v223 offset:4608                    // 0000000090AC: D9FE1200 1C0000DF
	ds_read_b128 v[32:35], v223 offset:5632                    // 0000000090B4: D9FE1600 200000DF
	ds_read_b128 v[36:39], v223 offset:6656                    // 0000000090BC: D9FE1A00 240000DF
	ds_read_b128 v[40:43], v223 offset:7680                    // 0000000090C4: D9FE1E00 280000DF
	ds_read_b128 v[44:47], v223 offset:8704                    // 0000000090CC: D9FE2200 2C0000DF
	ds_read_b128 v[48:51], v223 offset:9728                    // 0000000090D4: D9FE2600 300000DF
	ds_read_b128 v[52:55], v223 offset:10752                   // 0000000090DC: D9FE2A00 340000DF
	ds_read_b128 v[56:59], v223 offset:11776                   // 0000000090E4: D9FE2E00 380000DF
	s_waitcnt vmcnt(10)                                        // 0000000090EC: BF8C0F7A
	s_waitcnt lgkmcnt(7)                                       // 0000000090F0: BF8CC77F
	v_mfma_f32_16x16x32_fp8_fp8 v[92:95], a[96:97], v[28:29], 0// 0000000090F4: D3F3005C 0A023960
	v_mfma_f32_16x16x32_fp8_fp8 v[96:99], a[112:113], v[28:29], 0// 0000000090FC: D3F30060 0A023970
	v_mfma_f32_16x16x32_fp8_fp8 v[92:95], a[98:99], v[30:31], v[92:95]// 000000009104: D3F3005C 0D723D62
	buffer_load_dwordx4 a[64:67], v204, s[16:19], 0 offen      // 00000000910C: E05C1000 808440CC
	v_mfma_f32_16x16x32_fp8_fp8 v[96:99], a[114:115], v[30:31], v[96:99]// 000000009114: D3F30060 0D823D72
	s_waitcnt lgkmcnt(6)                                       // 00000000911C: BF8CC67F
	v_mfma_f32_16x16x32_fp8_fp8 v[92:95], a[100:101], v[32:33], v[92:95]// 000000009120: D3F3005C 0D724164
	v_mfma_f32_16x16x32_fp8_fp8 v[96:99], a[116:117], v[32:33], v[96:99]// 000000009128: D3F30060 0D824174
	v_mfma_f32_16x16x32_fp8_fp8 v[92:95], a[102:103], v[34:35], v[92:95]// 000000009130: D3F3005C 0D724566
	buffer_load_dwordx4 a[68:71], v205, s[16:19], 0 offen      // 000000009138: E05C1000 808444CD
	v_mfma_f32_16x16x32_fp8_fp8 v[96:99], a[118:119], v[34:35], v[96:99]// 000000009140: D3F30060 0D824576
	s_waitcnt lgkmcnt(5)                                       // 000000009148: BF8CC57F
	v_mfma_f32_16x16x32_fp8_fp8 v[92:95], a[104:105], v[36:37], v[92:95]// 00000000914C: D3F3005C 0D724968
	v_mfma_f32_16x16x32_fp8_fp8 v[96:99], a[120:121], v[36:37], v[96:99]// 000000009154: D3F30060 0D824978
	v_mfma_f32_16x16x32_fp8_fp8 v[92:95], a[106:107], v[38:39], v[92:95]// 00000000915C: D3F3005C 0D724D6A
	buffer_load_dwordx4 a[72:75], v206, s[16:19], 0 offen      // 000000009164: E05C1000 808448CE
	v_mfma_f32_16x16x32_fp8_fp8 v[96:99], a[122:123], v[38:39], v[96:99]// 00000000916C: D3F30060 0D824D7A
	s_waitcnt lgkmcnt(4)                                       // 000000009174: BF8CC47F
	v_mfma_f32_16x16x32_fp8_fp8 v[92:95], a[108:109], v[40:41], v[92:95]// 000000009178: D3F3005C 0D72516C
	v_mfma_f32_16x16x32_fp8_fp8 v[96:99], a[124:125], v[40:41], v[96:99]// 000000009180: D3F30060 0D82517C
	v_mfma_f32_16x16x32_fp8_fp8 v[92:95], a[110:111], v[42:43], v[92:95]// 000000009188: D3F3005C 0D72556E
	buffer_load_dwordx4 a[76:79], v207, s[16:19], 0 offen      // 000000009190: E05C1000 80844CCF
	v_mfma_f32_16x16x32_fp8_fp8 v[96:99], a[126:127], v[42:43], v[96:99]// 000000009198: D3F30060 0D82557E
	s_waitcnt lgkmcnt(3)                                       // 0000000091A0: BF8CC37F
	v_mfma_f32_16x16x32_fp8_fp8 v[100:103], a[96:97], v[44:45], 0// 0000000091A4: D3F30064 0A025960
	v_mfma_f32_16x16x32_fp8_fp8 v[104:107], a[112:113], v[44:45], 0// 0000000091AC: D3F30068 0A025970
	v_mfma_f32_16x16x32_fp8_fp8 v[100:103], a[98:99], v[46:47], v[100:103]// 0000000091B4: D3F30064 0D925D62
	buffer_load_dwordx4 a[80:83], v204, s[16:19], 0 offen offset:1024// 0000000091BC: E05C1400 808450CC
	v_mfma_f32_16x16x32_fp8_fp8 v[104:107], a[114:115], v[46:47], v[104:107]// 0000000091C4: D3F30068 0DA25D72
	s_waitcnt lgkmcnt(2)                                       // 0000000091CC: BF8CC27F
	v_mfma_f32_16x16x32_fp8_fp8 v[100:103], a[100:101], v[48:49], v[100:103]// 0000000091D0: D3F30064 0D926164
	v_mfma_f32_16x16x32_fp8_fp8 v[104:107], a[116:117], v[48:49], v[104:107]// 0000000091D8: D3F30068 0DA26174
	v_mfma_f32_16x16x32_fp8_fp8 v[100:103], a[102:103], v[50:51], v[100:103]// 0000000091E0: D3F30064 0D926566
	buffer_load_dwordx4 a[84:87], v205, s[16:19], 0 offen offset:1024// 0000000091E8: E05C1400 808454CD
	v_mfma_f32_16x16x32_fp8_fp8 v[104:107], a[118:119], v[50:51], v[104:107]// 0000000091F0: D3F30068 0DA26576
	s_waitcnt lgkmcnt(1)                                       // 0000000091F8: BF8CC17F
	v_mfma_f32_16x16x32_fp8_fp8 v[100:103], a[104:105], v[52:53], v[100:103]// 0000000091FC: D3F30064 0D926968
	v_mfma_f32_16x16x32_fp8_fp8 v[104:107], a[120:121], v[52:53], v[104:107]// 000000009204: D3F30068 0DA26978
	v_mfma_f32_16x16x32_fp8_fp8 v[100:103], a[106:107], v[54:55], v[100:103]// 00000000920C: D3F30064 0D926D6A
	buffer_load_dwordx4 a[88:91], v206, s[16:19], 0 offen offset:1024// 000000009214: E05C1400 808458CE
	v_mfma_f32_16x16x32_fp8_fp8 v[104:107], a[122:123], v[54:55], v[104:107]// 00000000921C: D3F30068 0DA26D7A
	s_waitcnt lgkmcnt(0)                                       // 000000009224: BF8CC07F
	v_mfma_f32_16x16x32_fp8_fp8 v[100:103], a[108:109], v[56:57], v[100:103]// 000000009228: D3F30064 0D92716C
	v_mfma_f32_16x16x32_fp8_fp8 v[104:107], a[124:125], v[56:57], v[104:107]// 000000009230: D3F30068 0DA2717C
	v_mfma_f32_16x16x32_fp8_fp8 v[100:103], a[110:111], v[58:59], v[100:103]// 000000009238: D3F30064 0D92756E
	buffer_load_dwordx4 a[92:95], v207, s[16:19], 0 offen offset:1024// 000000009240: E05C1400 80845CCF
	v_mfma_f32_16x16x32_fp8_fp8 v[104:107], a[126:127], v[58:59], v[104:107]// 000000009248: D3F30068 0DA2757E
	s_addk_i32 s64, 0x100                                      // 000000009250: B7400100
	s_branch label_0F40                                        // 000000009254: BF82F42A

0000000000009258 <label_1B16>:
	s_cmp_lt_i32 s64, s62                                      // 000000009258: BF043E40
	s_cbranch_scc0 label_313C                                  // 00000000925C: BF841624
	s_waitcnt vmcnt(10)                                        // 000000009260: BF8C0F7A
	v_mfma_f32_16x16x32_fp8_fp8 v[28:31], a[0:1], v[12:13], 0  // 000000009264: D3F3001C 0A021900
	s_add_u32 s12, s86, s69                                    // 00000000926C: 800C4556
	s_addc_u32 s13, s87, 0                                     // 000000009270: 820D8057
	v_mfma_f32_16x16x32_fp8_fp8 v[28:31], a[2:3], v[14:15], v[28:31]// 000000009274: D3F3001C 0C721D02
	s_add_u32 s16, s88, s70                                    // 00000000927C: 80104658
	s_addc_u32 s17, s89, 0                                     // 000000009280: 82118059
	v_mfma_f32_16x16x32_fp8_fp8 v[28:31], a[4:5], v[16:17], v[28:31]// 000000009284: D3F3001C 0C722104
	buffer_load_dwordx4 a[32:35], v202, s[12:15], 0 offen      // 00000000928C: E05C1000 808320CA
	v_mfma_f32_16x16x32_fp8_fp8 v[28:31], a[6:7], v[18:19], v[28:31]// 000000009294: D3F3001C 0C722506
	s_add_u32 s20, s90, s71                                    // 00000000929C: 8014475A
	s_addc_u32 s21, s91, 0                                     // 0000000092A0: 8215805B
	v_mfma_f32_16x16x32_fp8_fp8 v[32:35], a[8:9], v[12:13], 0  // 0000000092A4: D3F30020 0A021908
	s_add_u32 s24, s92, s71                                    // 0000000092AC: 8018475C
	s_addc_u32 s25, s93, 0                                     // 0000000092B0: 8219805D
	v_mfma_f32_16x16x32_fp8_fp8 v[32:35], a[10:11], v[14:15], v[32:35]// 0000000092B4: D3F30020 0C821D0A
	s_add_u32 s69, s69, 0x1000                                 // 0000000092BC: 8045FF45 00001000
	s_add_u32 s70, s70, 0x8000                                 // 0000000092C4: 8046FF46 00008000
	v_mfma_f32_16x16x32_fp8_fp8 v[32:35], a[12:13], v[16:17], v[32:35]// 0000000092CC: D3F30020 0C82210C
	buffer_load_dwordx4 a[36:39], v203, s[12:15], 0 offen      // 0000000092D4: E05C1000 808324CB
	v_mfma_f32_16x16x32_fp8_fp8 v[32:35], a[14:15], v[18:19], v[32:35]// 0000000092DC: D3F30020 0C82250E
	v_mfma_f32_16x16x32_fp8_fp8 v[36:39], a[16:17], v[12:13], 0// 0000000092E4: D3F30024 0A021910
	v_mfma_f32_16x16x32_fp8_fp8 v[36:39], a[18:19], v[14:15], v[36:39]// 0000000092EC: D3F30024 0C921D12
	v_mfma_f32_16x16x32_fp8_fp8 v[36:39], a[20:21], v[16:17], v[36:39]// 0000000092F4: D3F30024 0C922114
	buffer_load_dwordx4 a[40:43], v202, s[12:15], 0 offen offset:1024// 0000000092FC: E05C1400 808328CA
	v_mfma_f32_16x16x32_fp8_fp8 v[36:39], a[22:23], v[18:19], v[36:39]// 000000009304: D3F30024 0C922516
	v_mfma_f32_16x16x32_fp8_fp8 v[40:43], a[24:25], v[12:13], 0// 00000000930C: D3F30028 0A021918
	v_mfma_f32_16x16x32_fp8_fp8 v[40:43], a[26:27], v[14:15], v[40:43]// 000000009314: D3F30028 0CA21D1A
	v_mfma_f32_16x16x32_fp8_fp8 v[40:43], a[28:29], v[16:17], v[40:43]// 00000000931C: D3F30028 0CA2211C
	buffer_load_dwordx4 a[44:47], v203, s[12:15], 0 offen offset:1024// 000000009324: E05C1400 80832CCB
	v_mfma_f32_16x16x32_fp8_fp8 v[40:43], a[30:31], v[18:19], v[40:43]// 00000000932C: D3F30028 0CA2251E
	v_mfma_f32_16x16x32_fp8_fp8 v[44:47], a[0:1], v[20:21], 0  // 000000009334: D3F3002C 0A022900
	v_mfma_f32_16x16x32_fp8_fp8 v[44:47], a[2:3], v[22:23], v[44:47]// 00000000933C: D3F3002C 0CB22D02
	v_mfma_f32_16x16x32_fp8_fp8 v[44:47], a[4:5], v[24:25], v[44:47]// 000000009344: D3F3002C 0CB23104
	buffer_load_dwordx4 a[48:51], v202, s[12:15], 0 offen offset:2048// 00000000934C: E05C1800 808330CA
	v_mfma_f32_16x16x32_fp8_fp8 v[44:47], a[6:7], v[26:27], v[44:47]// 000000009354: D3F3002C 0CB23506
	v_mfma_f32_16x16x32_fp8_fp8 v[48:51], a[8:9], v[20:21], 0  // 00000000935C: D3F30030 0A022908
	v_mfma_f32_16x16x32_fp8_fp8 v[48:51], a[10:11], v[22:23], v[48:51]// 000000009364: D3F30030 0CC22D0A
	v_mfma_f32_16x16x32_fp8_fp8 v[48:51], a[12:13], v[24:25], v[48:51]// 00000000936C: D3F30030 0CC2310C
	buffer_load_dwordx4 a[52:55], v203, s[12:15], 0 offen offset:2048// 000000009374: E05C1800 808334CB
	v_mfma_f32_16x16x32_fp8_fp8 v[48:51], a[14:15], v[26:27], v[48:51]// 00000000937C: D3F30030 0CC2350E
	v_mfma_f32_16x16x32_fp8_fp8 v[52:55], a[16:17], v[20:21], 0// 000000009384: D3F30034 0A022910
	v_mfma_f32_16x16x32_fp8_fp8 v[52:55], a[18:19], v[22:23], v[52:55]// 00000000938C: D3F30034 0CD22D12
	v_mfma_f32_16x16x32_fp8_fp8 v[52:55], a[20:21], v[24:25], v[52:55]// 000000009394: D3F30034 0CD23114
	buffer_load_dwordx4 a[56:59], v202, s[12:15], 0 offen offset:3072// 00000000939C: E05C1C00 808338CA
	v_mfma_f32_16x16x32_fp8_fp8 v[52:55], a[22:23], v[26:27], v[52:55]// 0000000093A4: D3F30034 0CD23516
	v_mfma_f32_16x16x32_fp8_fp8 v[56:59], a[24:25], v[20:21], 0// 0000000093AC: D3F30038 0A022918
	v_mfma_f32_16x16x32_fp8_fp8 v[56:59], a[26:27], v[22:23], v[56:59]// 0000000093B4: D3F30038 0CE22D1A
	v_mfma_f32_16x16x32_fp8_fp8 v[56:59], a[28:29], v[24:25], v[56:59]// 0000000093BC: D3F30038 0CE2311C
	buffer_load_dwordx4 a[60:63], v203, s[12:15], 0 offen offset:3072// 0000000093C4: E05C1C00 80833CCB
	v_mfma_f32_16x16x32_fp8_fp8 v[56:59], a[30:31], v[26:27], v[56:59]// 0000000093CC: D3F30038 0CE2351E
	s_waitcnt vmcnt(16)                                        // 0000000093D4: BF8C4F70
	v_pk_mul_f32 v[28:29], v[124:125], v[28:29]                // 0000000093D8: D3B1401C 1802397C
	v_pk_mul_f32 v[30:31], v[124:125], v[30:31]                // 0000000093E0: D3B1401E 18023D7C
	v_mul_f32_dpp v28, v128, v28 row_newbcast:0 row_mask:0xf bank_mask:0xf// 0000000093E8: 0A3838FA FF015080
	v_mul_f32_dpp v29, v128, v29 row_newbcast:1 row_mask:0xf bank_mask:0xf// 0000000093F0: 0A3A3AFA FF015180
	v_mul_f32_dpp v30, v128, v30 row_newbcast:2 row_mask:0xf bank_mask:0xf// 0000000093F8: 0A3C3CFA FF015280
	v_mul_f32_dpp v31, v128, v31 row_newbcast:3 row_mask:0xf bank_mask:0xf// 000000009400: 0A3E3EFA FF015380
	v_pk_mul_f32 v[32:33], v[124:125], v[32:33]                // 000000009408: D3B14020 1802417C
	v_pk_mul_f32 v[34:35], v[124:125], v[34:35]                // 000000009410: D3B14022 1802457C
	v_mul_f32_dpp v32, v128, v32 row_newbcast:4 row_mask:0xf bank_mask:0xf// 000000009418: 0A4040FA FF015480
	v_mul_f32_dpp v33, v128, v33 row_newbcast:5 row_mask:0xf bank_mask:0xf// 000000009420: 0A4242FA FF015580
	v_mul_f32_dpp v34, v128, v34 row_newbcast:6 row_mask:0xf bank_mask:0xf// 000000009428: 0A4444FA FF015680
	v_mul_f32_dpp v35, v128, v35 row_newbcast:7 row_mask:0xf bank_mask:0xf// 000000009430: 0A4646FA FF015780
	v_pk_mul_f32 v[36:37], v[124:125], v[36:37]                // 000000009438: D3B14024 1802497C
	v_pk_mul_f32 v[38:39], v[124:125], v[38:39]                // 000000009440: D3B14026 18024D7C
	v_mul_f32_dpp v36, v128, v36 row_newbcast:8 row_mask:0xf bank_mask:0xf// 000000009448: 0A4848FA FF015880
	v_mul_f32_dpp v37, v128, v37 row_newbcast:9 row_mask:0xf bank_mask:0xf// 000000009450: 0A4A4AFA FF015980
	v_mul_f32_dpp v38, v128, v38 row_newbcast:10 row_mask:0xf bank_mask:0xf// 000000009458: 0A4C4CFA FF015A80
	v_mul_f32_dpp v39, v128, v39 row_newbcast:11 row_mask:0xf bank_mask:0xf// 000000009460: 0A4E4EFA FF015B80
	v_pk_mul_f32 v[40:41], v[124:125], v[40:41]                // 000000009468: D3B14028 1802517C
	v_pk_mul_f32 v[42:43], v[124:125], v[42:43]                // 000000009470: D3B1402A 1802557C
	v_mul_f32_dpp v40, v128, v40 row_newbcast:12 row_mask:0xf bank_mask:0xf// 000000009478: 0A5050FA FF015C80
	v_mul_f32_dpp v41, v128, v41 row_newbcast:13 row_mask:0xf bank_mask:0xf// 000000009480: 0A5252FA FF015D80
	v_mul_f32_dpp v42, v128, v42 row_newbcast:14 row_mask:0xf bank_mask:0xf// 000000009488: 0A5454FA FF015E80
	v_mul_f32_dpp v43, v128, v43 row_newbcast:15 row_mask:0xf bank_mask:0xf// 000000009490: 0A5656FA FF015F80
	v_pk_mul_f32 v[44:45], v[126:127], v[44:45]                // 000000009498: D3B1402C 1802597E
	v_pk_mul_f32 v[46:47], v[126:127], v[46:47]                // 0000000094A0: D3B1402E 18025D7E
	v_mul_f32_dpp v44, v128, v44 row_newbcast:0 row_mask:0xf bank_mask:0xf// 0000000094A8: 0A5858FA FF015080
	v_mul_f32_dpp v45, v128, v45 row_newbcast:1 row_mask:0xf bank_mask:0xf// 0000000094B0: 0A5A5AFA FF015180
	v_mul_f32_dpp v46, v128, v46 row_newbcast:2 row_mask:0xf bank_mask:0xf// 0000000094B8: 0A5C5CFA FF015280
	v_mul_f32_dpp v47, v128, v47 row_newbcast:3 row_mask:0xf bank_mask:0xf// 0000000094C0: 0A5E5EFA FF015380
	v_pk_mul_f32 v[48:49], v[126:127], v[48:49]                // 0000000094C8: D3B14030 1802617E
	v_pk_mul_f32 v[50:51], v[126:127], v[50:51]                // 0000000094D0: D3B14032 1802657E
	v_mul_f32_dpp v48, v128, v48 row_newbcast:4 row_mask:0xf bank_mask:0xf// 0000000094D8: 0A6060FA FF015480
	v_mul_f32_dpp v49, v128, v49 row_newbcast:5 row_mask:0xf bank_mask:0xf// 0000000094E0: 0A6262FA FF015580
	v_mul_f32_dpp v50, v128, v50 row_newbcast:6 row_mask:0xf bank_mask:0xf// 0000000094E8: 0A6464FA FF015680
	v_mul_f32_dpp v51, v128, v51 row_newbcast:7 row_mask:0xf bank_mask:0xf// 0000000094F0: 0A6666FA FF015780
	v_pk_mul_f32 v[52:53], v[126:127], v[52:53]                // 0000000094F8: D3B14034 1802697E
	v_pk_mul_f32 v[54:55], v[126:127], v[54:55]                // 000000009500: D3B14036 18026D7E
	v_mul_f32_dpp v52, v128, v52 row_newbcast:8 row_mask:0xf bank_mask:0xf// 000000009508: 0A6868FA FF015880
	v_mul_f32_dpp v53, v128, v53 row_newbcast:9 row_mask:0xf bank_mask:0xf// 000000009510: 0A6A6AFA FF015980
	v_mul_f32_dpp v54, v128, v54 row_newbcast:10 row_mask:0xf bank_mask:0xf// 000000009518: 0A6C6CFA FF015A80
	v_mul_f32_dpp v55, v128, v55 row_newbcast:11 row_mask:0xf bank_mask:0xf// 000000009520: 0A6E6EFA FF015B80
	v_pk_mul_f32 v[56:57], v[126:127], v[56:57]                // 000000009528: D3B14038 1802717E
	v_pk_mul_f32 v[58:59], v[126:127], v[58:59]                // 000000009530: D3B1403A 1802757E
	v_mul_f32_dpp v56, v128, v56 row_newbcast:12 row_mask:0xf bank_mask:0xf// 000000009538: 0A7070FA FF015C80
	v_mul_f32_dpp v57, v128, v57 row_newbcast:13 row_mask:0xf bank_mask:0xf// 000000009540: 0A7272FA FF015D80
	v_mul_f32_dpp v58, v128, v58 row_newbcast:14 row_mask:0xf bank_mask:0xf// 000000009548: 0A7474FA FF015E80
	v_mul_f32_dpp v59, v128, v59 row_newbcast:15 row_mask:0xf bank_mask:0xf// 000000009550: 0A7676FA FF015F80
	v_add_u32_e32 v186, s64, v196                              // 000000009558: 69758840
	v_add_u32_e32 v187, 0, v186                                // 00000000955C: 69777480
	v_cmp_lt_u32_e64 s[98:99], v187, v194                      // 000000009560: D0C90062 000385BB
	s_nop 0                                                    // 000000009568: BF800000
	v_cndmask_b32_e64 v28, v197, v28, s[98:99]                 // 00000000956C: D100001C 018A39C5
	v_add_u32_e32 v187, 1, v186                                // 000000009574: 69777481
	v_cmp_lt_u32_e64 s[98:99], v187, v194                      // 000000009578: D0C90062 000385BB
	s_nop 0                                                    // 000000009580: BF800000
	v_cndmask_b32_e64 v29, v197, v29, s[98:99]                 // 000000009584: D100001D 018A3BC5
	v_add_u32_e32 v187, 2, v186                                // 00000000958C: 69777482
	v_cmp_lt_u32_e64 s[98:99], v187, v194                      // 000000009590: D0C90062 000385BB
	s_nop 0                                                    // 000000009598: BF800000
	v_cndmask_b32_e64 v30, v197, v30, s[98:99]                 // 00000000959C: D100001E 018A3DC5
	v_add_u32_e32 v187, 3, v186                                // 0000000095A4: 69777483
	v_cmp_lt_u32_e64 s[98:99], v187, v194                      // 0000000095A8: D0C90062 000385BB
	s_nop 0                                                    // 0000000095B0: BF800000
	v_cndmask_b32_e64 v31, v197, v31, s[98:99]                 // 0000000095B4: D100001F 018A3FC5
	v_add_u32_e32 v187, 64, v186                               // 0000000095BC: 697774C0
	v_cmp_lt_u32_e64 s[98:99], v187, v194                      // 0000000095C0: D0C90062 000385BB
	s_nop 0                                                    // 0000000095C8: BF800000
	v_cndmask_b32_e64 v32, v197, v32, s[98:99]                 // 0000000095CC: D1000020 018A41C5
	v_add_u32_e32 v187, 0x41, v186                             // 0000000095D4: 697774FF 00000041
	v_cmp_lt_u32_e64 s[98:99], v187, v194                      // 0000000095DC: D0C90062 000385BB
	s_nop 0                                                    // 0000000095E4: BF800000
	v_cndmask_b32_e64 v33, v197, v33, s[98:99]                 // 0000000095E8: D1000021 018A43C5
	v_add_u32_e32 v187, 0x42, v186                             // 0000000095F0: 697774FF 00000042
	v_cmp_lt_u32_e64 s[98:99], v187, v194                      // 0000000095F8: D0C90062 000385BB
	s_nop 0                                                    // 000000009600: BF800000
	v_cndmask_b32_e64 v34, v197, v34, s[98:99]                 // 000000009604: D1000022 018A45C5
	v_add_u32_e32 v187, 0x43, v186                             // 00000000960C: 697774FF 00000043
	v_cmp_lt_u32_e64 s[98:99], v187, v194                      // 000000009614: D0C90062 000385BB
	s_nop 0                                                    // 00000000961C: BF800000
	v_cndmask_b32_e64 v35, v197, v35, s[98:99]                 // 000000009620: D1000023 018A47C5
	v_add_u32_e32 v187, 0x80, v186                             // 000000009628: 697774FF 00000080
	v_cmp_lt_u32_e64 s[98:99], v187, v194                      // 000000009630: D0C90062 000385BB
	s_nop 0                                                    // 000000009638: BF800000
	v_cndmask_b32_e64 v36, v197, v36, s[98:99]                 // 00000000963C: D1000024 018A49C5
	v_add_u32_e32 v187, 0x81, v186                             // 000000009644: 697774FF 00000081
	v_cmp_lt_u32_e64 s[98:99], v187, v194                      // 00000000964C: D0C90062 000385BB
	s_nop 0                                                    // 000000009654: BF800000
	v_cndmask_b32_e64 v37, v197, v37, s[98:99]                 // 000000009658: D1000025 018A4BC5
	v_add_u32_e32 v187, 0x82, v186                             // 000000009660: 697774FF 00000082
	v_cmp_lt_u32_e64 s[98:99], v187, v194                      // 000000009668: D0C90062 000385BB
	s_nop 0                                                    // 000000009670: BF800000
	v_cndmask_b32_e64 v38, v197, v38, s[98:99]                 // 000000009674: D1000026 018A4DC5
	v_add_u32_e32 v187, 0x83, v186                             // 00000000967C: 697774FF 00000083
	v_cmp_lt_u32_e64 s[98:99], v187, v194                      // 000000009684: D0C90062 000385BB
	s_nop 0                                                    // 00000000968C: BF800000
	v_cndmask_b32_e64 v39, v197, v39, s[98:99]                 // 000000009690: D1000027 018A4FC5
	v_add_u32_e32 v187, 0xc0, v186                             // 000000009698: 697774FF 000000C0
	v_cmp_lt_u32_e64 s[98:99], v187, v194                      // 0000000096A0: D0C90062 000385BB
	s_nop 0                                                    // 0000000096A8: BF800000
	v_cndmask_b32_e64 v40, v197, v40, s[98:99]                 // 0000000096AC: D1000028 018A51C5
	v_add_u32_e32 v187, 0xc1, v186                             // 0000000096B4: 697774FF 000000C1
	v_cmp_lt_u32_e64 s[98:99], v187, v194                      // 0000000096BC: D0C90062 000385BB
	s_nop 0                                                    // 0000000096C4: BF800000
	v_cndmask_b32_e64 v41, v197, v41, s[98:99]                 // 0000000096C8: D1000029 018A53C5
	v_add_u32_e32 v187, 0xc2, v186                             // 0000000096D0: 697774FF 000000C2
	v_cmp_lt_u32_e64 s[98:99], v187, v194                      // 0000000096D8: D0C90062 000385BB
	s_nop 0                                                    // 0000000096E0: BF800000
	v_cndmask_b32_e64 v42, v197, v42, s[98:99]                 // 0000000096E4: D100002A 018A55C5
	v_add_u32_e32 v187, 0xc3, v186                             // 0000000096EC: 697774FF 000000C3
	v_cmp_lt_u32_e64 s[98:99], v187, v194                      // 0000000096F4: D0C90062 000385BB
	s_nop 0                                                    // 0000000096FC: BF800000
	v_cndmask_b32_e64 v43, v197, v43, s[98:99]                 // 000000009700: D100002B 018A57C5
	v_add_u32_e32 v187, 0, v186                                // 000000009708: 69777480
	v_cmp_lt_u32_e64 s[98:99], v187, v195                      // 00000000970C: D0C90062 000387BB
	s_nop 0                                                    // 000000009714: BF800000
	v_cndmask_b32_e64 v44, v197, v44, s[98:99]                 // 000000009718: D100002C 018A59C5
	v_add_u32_e32 v187, 1, v186                                // 000000009720: 69777481
	v_cmp_lt_u32_e64 s[98:99], v187, v195                      // 000000009724: D0C90062 000387BB
	s_nop 0                                                    // 00000000972C: BF800000
	v_cndmask_b32_e64 v45, v197, v45, s[98:99]                 // 000000009730: D100002D 018A5BC5
	v_add_u32_e32 v187, 2, v186                                // 000000009738: 69777482
	v_cmp_lt_u32_e64 s[98:99], v187, v195                      // 00000000973C: D0C90062 000387BB
	s_nop 0                                                    // 000000009744: BF800000
	v_cndmask_b32_e64 v46, v197, v46, s[98:99]                 // 000000009748: D100002E 018A5DC5
	v_add_u32_e32 v187, 3, v186                                // 000000009750: 69777483
	v_cmp_lt_u32_e64 s[98:99], v187, v195                      // 000000009754: D0C90062 000387BB
	s_nop 0                                                    // 00000000975C: BF800000
	v_cndmask_b32_e64 v47, v197, v47, s[98:99]                 // 000000009760: D100002F 018A5FC5
	v_add_u32_e32 v187, 64, v186                               // 000000009768: 697774C0
	v_cmp_lt_u32_e64 s[98:99], v187, v195                      // 00000000976C: D0C90062 000387BB
	s_nop 0                                                    // 000000009774: BF800000
	v_cndmask_b32_e64 v48, v197, v48, s[98:99]                 // 000000009778: D1000030 018A61C5
	v_add_u32_e32 v187, 0x41, v186                             // 000000009780: 697774FF 00000041
	v_cmp_lt_u32_e64 s[98:99], v187, v195                      // 000000009788: D0C90062 000387BB
	s_nop 0                                                    // 000000009790: BF800000
	v_cndmask_b32_e64 v49, v197, v49, s[98:99]                 // 000000009794: D1000031 018A63C5
	v_add_u32_e32 v187, 0x42, v186                             // 00000000979C: 697774FF 00000042
	v_cmp_lt_u32_e64 s[98:99], v187, v195                      // 0000000097A4: D0C90062 000387BB
	s_nop 0                                                    // 0000000097AC: BF800000
	v_cndmask_b32_e64 v50, v197, v50, s[98:99]                 // 0000000097B0: D1000032 018A65C5
	v_add_u32_e32 v187, 0x43, v186                             // 0000000097B8: 697774FF 00000043
	v_cmp_lt_u32_e64 s[98:99], v187, v195                      // 0000000097C0: D0C90062 000387BB
	s_nop 0                                                    // 0000000097C8: BF800000
	v_cndmask_b32_e64 v51, v197, v51, s[98:99]                 // 0000000097CC: D1000033 018A67C5
	v_add_u32_e32 v187, 0x80, v186                             // 0000000097D4: 697774FF 00000080
	v_cmp_lt_u32_e64 s[98:99], v187, v195                      // 0000000097DC: D0C90062 000387BB
	s_nop 0                                                    // 0000000097E4: BF800000
	v_cndmask_b32_e64 v52, v197, v52, s[98:99]                 // 0000000097E8: D1000034 018A69C5
	v_add_u32_e32 v187, 0x81, v186                             // 0000000097F0: 697774FF 00000081
	v_cmp_lt_u32_e64 s[98:99], v187, v195                      // 0000000097F8: D0C90062 000387BB
	s_nop 0                                                    // 000000009800: BF800000
	v_cndmask_b32_e64 v53, v197, v53, s[98:99]                 // 000000009804: D1000035 018A6BC5
	v_add_u32_e32 v187, 0x82, v186                             // 00000000980C: 697774FF 00000082
	v_cmp_lt_u32_e64 s[98:99], v187, v195                      // 000000009814: D0C90062 000387BB
	s_nop 0                                                    // 00000000981C: BF800000
	v_cndmask_b32_e64 v54, v197, v54, s[98:99]                 // 000000009820: D1000036 018A6DC5
	v_add_u32_e32 v187, 0x83, v186                             // 000000009828: 697774FF 00000083
	v_cmp_lt_u32_e64 s[98:99], v187, v195                      // 000000009830: D0C90062 000387BB
	s_nop 0                                                    // 000000009838: BF800000
	v_cndmask_b32_e64 v55, v197, v55, s[98:99]                 // 00000000983C: D1000037 018A6FC5
	v_add_u32_e32 v187, 0xc0, v186                             // 000000009844: 697774FF 000000C0
	v_cmp_lt_u32_e64 s[98:99], v187, v195                      // 00000000984C: D0C90062 000387BB
	s_nop 0                                                    // 000000009854: BF800000
	v_cndmask_b32_e64 v56, v197, v56, s[98:99]                 // 000000009858: D1000038 018A71C5
	v_add_u32_e32 v187, 0xc1, v186                             // 000000009860: 697774FF 000000C1
	v_cmp_lt_u32_e64 s[98:99], v187, v195                      // 000000009868: D0C90062 000387BB
	s_nop 0                                                    // 000000009870: BF800000
	v_cndmask_b32_e64 v57, v197, v57, s[98:99]                 // 000000009874: D1000039 018A73C5
	v_add_u32_e32 v187, 0xc2, v186                             // 00000000987C: 697774FF 000000C2
	v_cmp_lt_u32_e64 s[98:99], v187, v195                      // 000000009884: D0C90062 000387BB
	s_nop 0                                                    // 00000000988C: BF800000
	v_cndmask_b32_e64 v58, v197, v58, s[98:99]                 // 000000009890: D100003A 018A75C5
	v_add_u32_e32 v187, 0xc3, v186                             // 000000009898: 697774FF 000000C3
	v_cmp_lt_u32_e64 s[98:99], v187, v195                      // 0000000098A0: D0C90062 000387BB
	s_nop 0                                                    // 0000000098A8: BF800000
	v_cndmask_b32_e64 v59, v197, v59, s[98:99]                 // 0000000098AC: D100003B 018A77C5
	v_mov_b32_e32 v150, v28                                    // 0000000098B4: 7F2C031C
	v_max3_f32 v150, v28, v29, v150                            // 0000000098B8: D1D30096 065A3B1C
	v_max3_f32 v150, v30, v31, v150                            // 0000000098C0: D1D30096 065A3F1E
	v_max3_f32 v150, v32, v33, v150                            // 0000000098C8: D1D30096 065A4320
	v_max3_f32 v150, v34, v35, v150                            // 0000000098D0: D1D30096 065A4722
	v_max3_f32 v150, v36, v37, v150                            // 0000000098D8: D1D30096 065A4B24
	v_max3_f32 v150, v38, v39, v150                            // 0000000098E0: D1D30096 065A4F26
	v_max3_f32 v150, v40, v41, v150                            // 0000000098E8: D1D30096 065A5328
	v_max3_f32 v150, v42, v43, v150                            // 0000000098F0: D1D30096 065A572A
	v_mov_b32_e32 v151, v44                                    // 0000000098F8: 7F2E032C
	v_max3_f32 v151, v44, v45, v151                            // 0000000098FC: D1D30097 065E5B2C
	v_max3_f32 v151, v46, v47, v151                            // 000000009904: D1D30097 065E5F2E
	v_max3_f32 v151, v48, v49, v151                            // 00000000990C: D1D30097 065E6330
	v_max3_f32 v151, v50, v51, v151                            // 000000009914: D1D30097 065E6732
	v_max3_f32 v151, v52, v53, v151                            // 00000000991C: D1D30097 065E6B34
	v_max3_f32 v151, v54, v55, v151                            // 000000009924: D1D30097 065E6F36
	v_max3_f32 v151, v56, v57, v151                            // 00000000992C: D1D30097 065E7338
	v_max3_f32 v151, v58, v59, v151                            // 000000009934: D1D30097 065E773A
	ds_write_b64 v220, v[150:151]                              // 00000000993C: D89A0000 000096DC
	v_pk_mul_f32 v[108:109], v[142:143], v[108:109]            // 000000009944: D3B1406C 1802D98E
	v_pk_mul_f32 v[110:111], v[142:143], v[110:111]            // 00000000994C: D3B1406E 1802DD8E
	v_pk_mul_f32 v[112:113], v[142:143], v[112:113]            // 000000009954: D3B14070 1802E18E
	v_pk_mul_f32 v[114:115], v[142:143], v[114:115]            // 00000000995C: D3B14072 1802E58E
	v_pk_mul_f32 v[116:117], v[144:145], v[116:117]            // 000000009964: D3B14074 1802E990
	v_pk_mul_f32 v[118:119], v[144:145], v[118:119]            // 00000000996C: D3B14076 1802ED90
	v_pk_mul_f32 v[120:121], v[144:145], v[120:121]            // 000000009974: D3B14078 1802F190
	v_pk_mul_f32 v[122:123], v[144:145], v[122:123]            // 00000000997C: D3B1407A 1802F590
	s_waitcnt lgkmcnt(0)                                       // 000000009984: BF8CC07F
	s_barrier                                                  // 000000009988: BF8A0000
	ds_read_b64 v[154:155], v221                               // 00000000998C: D8EC0000 9A0000DD
	ds_read_b64 v[156:157], v221 offset:128                    // 000000009994: D8EC0080 9C0000DD
	ds_read_b64 v[158:159], v221 offset:256                    // 00000000999C: D8EC0100 9E0000DD
	ds_read_b64 v[160:161], v221 offset:384                    // 0000000099A4: D8EC0180 A00000DD
	ds_read_b64 v[162:163], v221 offset:512                    // 0000000099AC: D8EC0200 A20000DD
	ds_read_b64 v[164:165], v221 offset:640                    // 0000000099B4: D8EC0280 A40000DD
	ds_read_b64 v[166:167], v221 offset:768                    // 0000000099BC: D8EC0300 A60000DD
	ds_read_b64 v[168:169], v221 offset:896                    // 0000000099C4: D8EC0380 A80000DD
	ds_read_b64 v[170:171], v221 offset:1024                   // 0000000099CC: D8EC0400 AA0000DD
	ds_read_b64 v[172:173], v221 offset:1152                   // 0000000099D4: D8EC0480 AC0000DD
	ds_read_b64 v[174:175], v221 offset:1280                   // 0000000099DC: D8EC0500 AE0000DD
	ds_read_b64 v[176:177], v221 offset:1408                   // 0000000099E4: D8EC0580 B00000DD
	ds_read_b64 v[178:179], v221 offset:1536                   // 0000000099EC: D8EC0600 B20000DD
	ds_read_b64 v[180:181], v221 offset:1664                   // 0000000099F4: D8EC0680 B40000DD
	ds_read_b64 v[182:183], v221 offset:1792                   // 0000000099FC: D8EC0700 B60000DD
	ds_read_b64 v[184:185], v221 offset:1920                   // 000000009A04: D8EC0780 B80000DD
	v_pk_mul_f32 v[92:93], v[132:133], v[92:93]                // 000000009A0C: D3B1405C 1802B984
	v_pk_mul_f32 v[94:95], v[132:133], v[94:95]                // 000000009A14: D3B1405E 1802BD84
	v_pk_mul_f32 v[96:97], v[132:133], v[96:97]                // 000000009A1C: D3B14060 1802C184
	v_pk_mul_f32 v[98:99], v[132:133], v[98:99]                // 000000009A24: D3B14062 1802C584
	v_pk_mul_f32 v[100:101], v[134:135], v[100:101]            // 000000009A2C: D3B14064 1802C986
	v_pk_mul_f32 v[102:103], v[134:135], v[102:103]            // 000000009A34: D3B14066 1802CD86
	v_pk_mul_f32 v[104:105], v[134:135], v[104:105]            // 000000009A3C: D3B14068 1802D186
	v_pk_mul_f32 v[106:107], v[134:135], v[106:107]            // 000000009A44: D3B1406A 1802D586
	s_waitcnt lgkmcnt(0)                                       // 000000009A4C: BF8CC07F
	v_max3_f32 v150, v154, v156, v150                          // 000000009A50: D1D30096 065B399A
	v_max3_f32 v151, v155, v157, v151                          // 000000009A58: D1D30097 065F3B9B
	v_max3_f32 v150, v158, v160, v150                          // 000000009A60: D1D30096 065B419E
	v_max3_f32 v151, v159, v161, v151                          // 000000009A68: D1D30097 065F439F
	v_max3_f32 v150, v162, v164, v150                          // 000000009A70: D1D30096 065B49A2
	v_max3_f32 v151, v163, v165, v151                          // 000000009A78: D1D30097 065F4BA3
	v_max3_f32 v150, v166, v168, v150                          // 000000009A80: D1D30096 065B51A6
	v_max3_f32 v151, v167, v169, v151                          // 000000009A88: D1D30097 065F53A7
	v_max3_f32 v150, v170, v172, v150                          // 000000009A90: D1D30096 065B59AA
	v_max3_f32 v151, v171, v173, v151                          // 000000009A98: D1D30097 065F5BAB
	v_max3_f32 v150, v174, v176, v150                          // 000000009AA0: D1D30096 065B61AE
	v_max3_f32 v151, v175, v177, v151                          // 000000009AA8: D1D30097 065F63AF
	v_max3_f32 v150, v178, v180, v150                          // 000000009AB0: D1D30096 065B69B2
	v_max3_f32 v151, v179, v181, v151                          // 000000009AB8: D1D30097 065F6BB3
	v_max3_f32 v150, v182, v184, v150                          // 000000009AC0: D1D30096 065B71B6
	v_max3_f32 v151, v183, v185, v151                          // 000000009AC8: D1D30097 065F73B7
	v_max_f32_e32 v140, v150, v138                             // 000000009AD0: 17191596
	v_mul_f32_e64 v186, -s46, v140                             // 000000009AD4: D10500BA 2003182E
	v_mov_b32_e32 v187, v186                                   // 000000009ADC: 7F7603BA
	v_pk_fma_f32 v[28:29], v[28:29], s[46:47], v[186:187]      // 000000009AE0: D3B0401C 1EE85D1C
	v_pk_fma_f32 v[30:31], v[30:31], s[46:47], v[186:187]      // 000000009AE8: D3B0401E 1EE85D1E
	v_exp_f32_e32 v28, v28                                     // 000000009AF0: 7E38411C
	v_exp_f32_e32 v29, v29                                     // 000000009AF4: 7E3A411D
	v_exp_f32_e32 v30, v30                                     // 000000009AF8: 7E3C411E
	v_exp_f32_e32 v31, v31                                     // 000000009AFC: 7E3E411F
	v_pk_fma_f32 v[32:33], v[32:33], s[46:47], v[186:187]      // 000000009B00: D3B04020 1EE85D20
	v_pk_fma_f32 v[34:35], v[34:35], s[46:47], v[186:187]      // 000000009B08: D3B04022 1EE85D22
	v_exp_f32_e32 v32, v32                                     // 000000009B10: 7E404120
	v_exp_f32_e32 v33, v33                                     // 000000009B14: 7E424121
	v_exp_f32_e32 v34, v34                                     // 000000009B18: 7E444122
	v_exp_f32_e32 v35, v35                                     // 000000009B1C: 7E464123
	v_pk_fma_f32 v[36:37], v[36:37], s[46:47], v[186:187]      // 000000009B20: D3B04024 1EE85D24
	v_pk_fma_f32 v[38:39], v[38:39], s[46:47], v[186:187]      // 000000009B28: D3B04026 1EE85D26
	v_exp_f32_e32 v36, v36                                     // 000000009B30: 7E484124
	v_exp_f32_e32 v37, v37                                     // 000000009B34: 7E4A4125
	v_exp_f32_e32 v38, v38                                     // 000000009B38: 7E4C4126
	v_exp_f32_e32 v39, v39                                     // 000000009B3C: 7E4E4127
	v_pk_fma_f32 v[40:41], v[40:41], s[46:47], v[186:187]      // 000000009B40: D3B04028 1EE85D28
	v_pk_fma_f32 v[42:43], v[42:43], s[46:47], v[186:187]      // 000000009B48: D3B0402A 1EE85D2A
	v_exp_f32_e32 v40, v40                                     // 000000009B50: 7E504128
	v_exp_f32_e32 v41, v41                                     // 000000009B54: 7E524129
	v_exp_f32_e32 v42, v42                                     // 000000009B58: 7E54412A
	v_exp_f32_e32 v43, v43                                     // 000000009B5C: 7E56412B
	v_max_f32_e32 v141, v151, v139                             // 000000009B60: 171B1797
	v_mul_f32_e64 v186, -s46, v141                             // 000000009B64: D10500BA 20031A2E
	v_mov_b32_e32 v187, v186                                   // 000000009B6C: 7F7603BA
	v_pk_fma_f32 v[44:45], v[44:45], s[46:47], v[186:187]      // 000000009B70: D3B0402C 1EE85D2C
	v_pk_fma_f32 v[46:47], v[46:47], s[46:47], v[186:187]      // 000000009B78: D3B0402E 1EE85D2E
	v_exp_f32_e32 v44, v44                                     // 000000009B80: 7E58412C
	v_exp_f32_e32 v45, v45                                     // 000000009B84: 7E5A412D
	v_exp_f32_e32 v46, v46                                     // 000000009B88: 7E5C412E
	v_exp_f32_e32 v47, v47                                     // 000000009B8C: 7E5E412F
	v_pk_fma_f32 v[48:49], v[48:49], s[46:47], v[186:187]      // 000000009B90: D3B04030 1EE85D30
	v_pk_fma_f32 v[50:51], v[50:51], s[46:47], v[186:187]      // 000000009B98: D3B04032 1EE85D32
	v_exp_f32_e32 v48, v48                                     // 000000009BA0: 7E604130
	v_exp_f32_e32 v49, v49                                     // 000000009BA4: 7E624131
	v_exp_f32_e32 v50, v50                                     // 000000009BA8: 7E644132
	v_exp_f32_e32 v51, v51                                     // 000000009BAC: 7E664133
	v_pk_fma_f32 v[52:53], v[52:53], s[46:47], v[186:187]      // 000000009BB0: D3B04034 1EE85D34
	v_pk_fma_f32 v[54:55], v[54:55], s[46:47], v[186:187]      // 000000009BB8: D3B04036 1EE85D36
	v_exp_f32_e32 v52, v52                                     // 000000009BC0: 7E684134
	v_exp_f32_e32 v53, v53                                     // 000000009BC4: 7E6A4135
	v_exp_f32_e32 v54, v54                                     // 000000009BC8: 7E6C4136
	v_exp_f32_e32 v55, v55                                     // 000000009BCC: 7E6E4137
	v_pk_fma_f32 v[56:57], v[56:57], s[46:47], v[186:187]      // 000000009BD0: D3B04038 1EE85D38
	v_pk_fma_f32 v[58:59], v[58:59], s[46:47], v[186:187]      // 000000009BD8: D3B0403A 1EE85D3A
	v_exp_f32_e32 v56, v56                                     // 000000009BE0: 7E704138
	v_exp_f32_e32 v57, v57                                     // 000000009BE4: 7E724139
	v_exp_f32_e32 v58, v58                                     // 000000009BE8: 7E74413A
	v_exp_f32_e32 v59, v59                                     // 000000009BEC: 7E76413B
	v_mul_f32_dpp v60, v130, v28 row_newbcast:0 row_mask:0xf bank_mask:0xf// 000000009BF0: 0A7838FA FF015082
	v_mul_f32_dpp v61, v130, v29 row_newbcast:1 row_mask:0xf bank_mask:0xf// 000000009BF8: 0A7A3AFA FF015182
	v_mul_f32_dpp v62, v130, v30 row_newbcast:2 row_mask:0xf bank_mask:0xf// 000000009C00: 0A7C3CFA FF015282
	v_mul_f32_dpp v63, v130, v31 row_newbcast:3 row_mask:0xf bank_mask:0xf// 000000009C08: 0A7E3EFA FF015382
	v_mul_f32_dpp v64, v130, v32 row_newbcast:4 row_mask:0xf bank_mask:0xf// 000000009C10: 0A8040FA FF015482
	v_mul_f32_dpp v65, v130, v33 row_newbcast:5 row_mask:0xf bank_mask:0xf// 000000009C18: 0A8242FA FF015582
	v_mul_f32_dpp v66, v130, v34 row_newbcast:6 row_mask:0xf bank_mask:0xf// 000000009C20: 0A8444FA FF015682
	v_mul_f32_dpp v67, v130, v35 row_newbcast:7 row_mask:0xf bank_mask:0xf// 000000009C28: 0A8646FA FF015782
	v_mul_f32_dpp v68, v130, v36 row_newbcast:8 row_mask:0xf bank_mask:0xf// 000000009C30: 0A8848FA FF015882
	v_mul_f32_dpp v69, v130, v37 row_newbcast:9 row_mask:0xf bank_mask:0xf// 000000009C38: 0A8A4AFA FF015982
	v_mul_f32_dpp v70, v130, v38 row_newbcast:10 row_mask:0xf bank_mask:0xf// 000000009C40: 0A8C4CFA FF015A82
	v_mul_f32_dpp v71, v130, v39 row_newbcast:11 row_mask:0xf bank_mask:0xf// 000000009C48: 0A8E4EFA FF015B82
	v_mul_f32_dpp v72, v130, v40 row_newbcast:12 row_mask:0xf bank_mask:0xf// 000000009C50: 0A9050FA FF015C82
	v_mul_f32_dpp v73, v130, v41 row_newbcast:13 row_mask:0xf bank_mask:0xf// 000000009C58: 0A9252FA FF015D82
	v_mul_f32_dpp v74, v130, v42 row_newbcast:14 row_mask:0xf bank_mask:0xf// 000000009C60: 0A9454FA FF015E82
	v_mul_f32_dpp v75, v130, v43 row_newbcast:15 row_mask:0xf bank_mask:0xf// 000000009C68: 0A9656FA FF015F82
	v_mul_f32_dpp v76, v130, v44 row_newbcast:0 row_mask:0xf bank_mask:0xf// 000000009C70: 0A9858FA FF015082
	v_mul_f32_dpp v77, v130, v45 row_newbcast:1 row_mask:0xf bank_mask:0xf// 000000009C78: 0A9A5AFA FF015182
	v_mul_f32_dpp v78, v130, v46 row_newbcast:2 row_mask:0xf bank_mask:0xf// 000000009C80: 0A9C5CFA FF015282
	v_mul_f32_dpp v79, v130, v47 row_newbcast:3 row_mask:0xf bank_mask:0xf// 000000009C88: 0A9E5EFA FF015382
	v_mul_f32_dpp v80, v130, v48 row_newbcast:4 row_mask:0xf bank_mask:0xf// 000000009C90: 0AA060FA FF015482
	v_mul_f32_dpp v81, v130, v49 row_newbcast:5 row_mask:0xf bank_mask:0xf// 000000009C98: 0AA262FA FF015582
	v_mul_f32_dpp v82, v130, v50 row_newbcast:6 row_mask:0xf bank_mask:0xf// 000000009CA0: 0AA464FA FF015682
	v_mul_f32_dpp v83, v130, v51 row_newbcast:7 row_mask:0xf bank_mask:0xf// 000000009CA8: 0AA666FA FF015782
	v_mul_f32_dpp v84, v130, v52 row_newbcast:8 row_mask:0xf bank_mask:0xf// 000000009CB0: 0AA868FA FF015882
	v_mul_f32_dpp v85, v130, v53 row_newbcast:9 row_mask:0xf bank_mask:0xf// 000000009CB8: 0AAA6AFA FF015982
	v_mul_f32_dpp v86, v130, v54 row_newbcast:10 row_mask:0xf bank_mask:0xf// 000000009CC0: 0AAC6CFA FF015A82
	v_mul_f32_dpp v87, v130, v55 row_newbcast:11 row_mask:0xf bank_mask:0xf// 000000009CC8: 0AAE6EFA FF015B82
	v_mul_f32_dpp v88, v130, v56 row_newbcast:12 row_mask:0xf bank_mask:0xf// 000000009CD0: 0AB070FA FF015C82
	v_mul_f32_dpp v89, v130, v57 row_newbcast:13 row_mask:0xf bank_mask:0xf// 000000009CD8: 0AB272FA FF015D82
	v_mul_f32_dpp v90, v130, v58 row_newbcast:14 row_mask:0xf bank_mask:0xf// 000000009CE0: 0AB474FA FF015E82
	v_mul_f32_dpp v91, v130, v59 row_newbcast:15 row_mask:0xf bank_mask:0xf// 000000009CE8: 0AB676FA FF015F82
	v_add_u32_e32 v186, s64, v196                              // 000000009CF0: 69758840
	v_add_u32_e32 v187, 0, v186                                // 000000009CF4: 69777480
	v_cmp_lt_u32_e32 vcc, v187, v194                           // 000000009CF8: 7D9385BB
	v_cndmask_b32_e32 v60, 0, v60, vcc                         // 000000009CFC: 00787880
	v_cmp_lt_u32_e32 vcc, v187, v195                           // 000000009D00: 7D9387BB
	v_cndmask_b32_e32 v76, 0, v76, vcc                         // 000000009D04: 00989880
	v_add_u32_e32 v187, 1, v186                                // 000000009D08: 69777481
	v_cmp_lt_u32_e32 vcc, v187, v194                           // 000000009D0C: 7D9385BB
	v_cndmask_b32_e32 v61, 0, v61, vcc                         // 000000009D10: 007A7A80
	v_cmp_lt_u32_e32 vcc, v187, v195                           // 000000009D14: 7D9387BB
	v_cndmask_b32_e32 v77, 0, v77, vcc                         // 000000009D18: 009A9A80
	v_add_u32_e32 v187, 2, v186                                // 000000009D1C: 69777482
	v_cmp_lt_u32_e32 vcc, v187, v194                           // 000000009D20: 7D9385BB
	v_cndmask_b32_e32 v62, 0, v62, vcc                         // 000000009D24: 007C7C80
	v_cmp_lt_u32_e32 vcc, v187, v195                           // 000000009D28: 7D9387BB
	v_cndmask_b32_e32 v78, 0, v78, vcc                         // 000000009D2C: 009C9C80
	v_add_u32_e32 v187, 3, v186                                // 000000009D30: 69777483
	v_cmp_lt_u32_e32 vcc, v187, v194                           // 000000009D34: 7D9385BB
	v_cndmask_b32_e32 v63, 0, v63, vcc                         // 000000009D38: 007E7E80
	v_cmp_lt_u32_e32 vcc, v187, v195                           // 000000009D3C: 7D9387BB
	v_cndmask_b32_e32 v79, 0, v79, vcc                         // 000000009D40: 009E9E80
	v_add_u32_e32 v187, 64, v186                               // 000000009D44: 697774C0
	v_cmp_lt_u32_e32 vcc, v187, v194                           // 000000009D48: 7D9385BB
	v_cndmask_b32_e32 v64, 0, v64, vcc                         // 000000009D4C: 00808080
	v_cmp_lt_u32_e32 vcc, v187, v195                           // 000000009D50: 7D9387BB
	v_cndmask_b32_e32 v80, 0, v80, vcc                         // 000000009D54: 00A0A080
	v_add_u32_e32 v187, 0x41, v186                             // 000000009D58: 697774FF 00000041
	v_cmp_lt_u32_e32 vcc, v187, v194                           // 000000009D60: 7D9385BB
	v_cndmask_b32_e32 v65, 0, v65, vcc                         // 000000009D64: 00828280
	v_cmp_lt_u32_e32 vcc, v187, v195                           // 000000009D68: 7D9387BB
	v_cndmask_b32_e32 v81, 0, v81, vcc                         // 000000009D6C: 00A2A280
	v_add_u32_e32 v187, 0x42, v186                             // 000000009D70: 697774FF 00000042
	v_cmp_lt_u32_e32 vcc, v187, v194                           // 000000009D78: 7D9385BB
	v_cndmask_b32_e32 v66, 0, v66, vcc                         // 000000009D7C: 00848480
	v_cmp_lt_u32_e32 vcc, v187, v195                           // 000000009D80: 7D9387BB
	v_cndmask_b32_e32 v82, 0, v82, vcc                         // 000000009D84: 00A4A480
	v_add_u32_e32 v187, 0x43, v186                             // 000000009D88: 697774FF 00000043
	v_cmp_lt_u32_e32 vcc, v187, v194                           // 000000009D90: 7D9385BB
	v_cndmask_b32_e32 v67, 0, v67, vcc                         // 000000009D94: 00868680
	v_cmp_lt_u32_e32 vcc, v187, v195                           // 000000009D98: 7D9387BB
	v_cndmask_b32_e32 v83, 0, v83, vcc                         // 000000009D9C: 00A6A680
	v_add_u32_e32 v187, 0x80, v186                             // 000000009DA0: 697774FF 00000080
	v_cmp_lt_u32_e32 vcc, v187, v194                           // 000000009DA8: 7D9385BB
	v_cndmask_b32_e32 v68, 0, v68, vcc                         // 000000009DAC: 00888880
	v_cmp_lt_u32_e32 vcc, v187, v195                           // 000000009DB0: 7D9387BB
	v_cndmask_b32_e32 v84, 0, v84, vcc                         // 000000009DB4: 00A8A880
	v_add_u32_e32 v187, 0x81, v186                             // 000000009DB8: 697774FF 00000081
	v_cmp_lt_u32_e32 vcc, v187, v194                           // 000000009DC0: 7D9385BB
	v_cndmask_b32_e32 v69, 0, v69, vcc                         // 000000009DC4: 008A8A80
	v_cmp_lt_u32_e32 vcc, v187, v195                           // 000000009DC8: 7D9387BB
	v_cndmask_b32_e32 v85, 0, v85, vcc                         // 000000009DCC: 00AAAA80
	v_add_u32_e32 v187, 0x82, v186                             // 000000009DD0: 697774FF 00000082
	v_cmp_lt_u32_e32 vcc, v187, v194                           // 000000009DD8: 7D9385BB
	v_cndmask_b32_e32 v70, 0, v70, vcc                         // 000000009DDC: 008C8C80
	v_cmp_lt_u32_e32 vcc, v187, v195                           // 000000009DE0: 7D9387BB
	v_cndmask_b32_e32 v86, 0, v86, vcc                         // 000000009DE4: 00ACAC80
	v_add_u32_e32 v187, 0x83, v186                             // 000000009DE8: 697774FF 00000083
	v_cmp_lt_u32_e32 vcc, v187, v194                           // 000000009DF0: 7D9385BB
	v_cndmask_b32_e32 v71, 0, v71, vcc                         // 000000009DF4: 008E8E80
	v_cmp_lt_u32_e32 vcc, v187, v195                           // 000000009DF8: 7D9387BB
	v_cndmask_b32_e32 v87, 0, v87, vcc                         // 000000009DFC: 00AEAE80
	v_add_u32_e32 v187, 0xc0, v186                             // 000000009E00: 697774FF 000000C0
	v_cmp_lt_u32_e32 vcc, v187, v194                           // 000000009E08: 7D9385BB
	v_cndmask_b32_e32 v72, 0, v72, vcc                         // 000000009E0C: 00909080
	v_cmp_lt_u32_e32 vcc, v187, v195                           // 000000009E10: 7D9387BB
	v_cndmask_b32_e32 v88, 0, v88, vcc                         // 000000009E14: 00B0B080
	v_add_u32_e32 v187, 0xc1, v186                             // 000000009E18: 697774FF 000000C1
	v_cmp_lt_u32_e32 vcc, v187, v194                           // 000000009E20: 7D9385BB
	v_cndmask_b32_e32 v73, 0, v73, vcc                         // 000000009E24: 00929280
	v_cmp_lt_u32_e32 vcc, v187, v195                           // 000000009E28: 7D9387BB
	v_cndmask_b32_e32 v89, 0, v89, vcc                         // 000000009E2C: 00B2B280
	v_add_u32_e32 v187, 0xc2, v186                             // 000000009E30: 697774FF 000000C2
	v_cmp_lt_u32_e32 vcc, v187, v194                           // 000000009E38: 7D9385BB
	v_cndmask_b32_e32 v74, 0, v74, vcc                         // 000000009E3C: 00949480
	v_cmp_lt_u32_e32 vcc, v187, v195                           // 000000009E40: 7D9387BB
	v_cndmask_b32_e32 v90, 0, v90, vcc                         // 000000009E44: 00B4B480
	v_add_u32_e32 v187, 0xc3, v186                             // 000000009E48: 697774FF 000000C3
	v_cmp_lt_u32_e32 vcc, v187, v194                           // 000000009E50: 7D9385BB
	v_cndmask_b32_e32 v75, 0, v75, vcc                         // 000000009E54: 00969680
	v_cmp_lt_u32_e32 vcc, v187, v195                           // 000000009E58: 7D9387BB
	v_cndmask_b32_e32 v91, 0, v91, vcc                         // 000000009E5C: 00B6B680
	buffer_load_dword v129, v208, s[20:23], 0 offen            // 000000009E60: E0501000 800581D0
	v_sub_f32_e32 v142, v138, v140                             // 000000009E68: 051D198A
	v_cmp_eq_u32_e64 s[98:99], v197, v138                      // 000000009E6C: D0CA0062 000315C5
	v_cndmask_b32_e64 v142, v142, 0, s[98:99]                  // 000000009E74: D100008E 0189018E
	v_mov_b32_e32 v138, v140                                   // 000000009E7C: 7F14038C
	v_mul_f32_e32 v142, s46, v142                              // 000000009E80: 0B1D1C2E
	v_exp_f32_e32 v142, v142                                   // 000000009E84: 7F1C418E
	v_sub_f32_e32 v144, v139, v141                             // 000000009E88: 05211B8B
	v_cmp_eq_u32_e64 s[98:99], v197, v139                      // 000000009E8C: D0CA0062 000317C5
	v_cndmask_b32_e64 v144, v144, 0, s[98:99]                  // 000000009E94: D1000090 01890190
	v_mov_b32_e32 v139, v141                                   // 000000009E9C: 7F16038D
	v_mul_f32_e32 v144, s46, v144                              // 000000009EA0: 0B21202E
	v_exp_f32_e32 v144, v144                                   // 000000009EA4: 7F204190
	v_mov_b32_e32 v143, v142                                   // 000000009EA8: 7F1E038E
	v_mov_b32_e32 v145, v144                                   // 000000009EAC: 7F220390
	buffer_load_dword v131, v209, s[24:27], 0 offen            // 000000009EB0: E0501000 800683D1
	s_waitcnt lgkmcnt(0)                                       // 000000009EB8: BF8CC07F
	s_barrier                                                  // 000000009EBC: BF8A0000
	v_mul_f32_e32 v146, v142, v146                             // 000000009EC0: 0B25258E
	v_mov_b32_e32 v147, 0                                      // 000000009EC4: 7F260280
	v_pk_add_f32 v[146:147], v[28:29], v[146:147]              // 000000009EC8: D3B24092 1803251C
	v_pk_add_f32 v[146:147], v[30:31], v[146:147]              // 000000009ED0: D3B24092 1803251E
	v_pk_add_f32 v[146:147], v[32:33], v[146:147]              // 000000009ED8: D3B24092 18032520
	v_pk_add_f32 v[146:147], v[34:35], v[146:147]              // 000000009EE0: D3B24092 18032522
	v_pk_add_f32 v[146:147], v[36:37], v[146:147]              // 000000009EE8: D3B24092 18032524
	v_pk_add_f32 v[146:147], v[38:39], v[146:147]              // 000000009EF0: D3B24092 18032526
	v_pk_add_f32 v[146:147], v[40:41], v[146:147]              // 000000009EF8: D3B24092 18032528
	v_pk_add_f32 v[146:147], v[42:43], v[146:147]              // 000000009F00: D3B24092 1803252A
	v_add_f32_e32 v146, v147, v146                             // 000000009F08: 03252593
	v_mul_f32_e32 v148, v144, v148                             // 000000009F0C: 0B292990
	v_mov_b32_e32 v149, 0                                      // 000000009F10: 7F2A0280
	v_pk_add_f32 v[148:149], v[44:45], v[148:149]              // 000000009F14: D3B24094 1803292C
	v_pk_add_f32 v[148:149], v[46:47], v[148:149]              // 000000009F1C: D3B24094 1803292E
	v_pk_add_f32 v[148:149], v[48:49], v[148:149]              // 000000009F24: D3B24094 18032930
	v_pk_add_f32 v[148:149], v[50:51], v[148:149]              // 000000009F2C: D3B24094 18032932
	v_pk_add_f32 v[148:149], v[52:53], v[148:149]              // 000000009F34: D3B24094 18032934
	v_pk_add_f32 v[148:149], v[54:55], v[148:149]              // 000000009F3C: D3B24094 18032936
	v_pk_add_f32 v[148:149], v[56:57], v[148:149]              // 000000009F44: D3B24094 18032938
	v_pk_add_f32 v[148:149], v[58:59], v[148:149]              // 000000009F4C: D3B24094 1803293A
	v_add_f32_e32 v148, v149, v148                             // 000000009F54: 03292995
	s_waitcnt lgkmcnt(0)                                       // 000000009F58: BF8CC07F
	v_sub_f32_e32 v150, v150, v138                             // 000000009F5C: 052D1596
	v_sub_f32_e32 v151, v151, v139                             // 000000009F60: 052F1797
	v_mul_f32_e32 v150, s46, v150                              // 000000009F64: 0B2D2C2E
	v_mul_f32_e32 v151, s46, v151                              // 000000009F68: 0B2F2E2E
	v_exp_f32_e32 v150, v150                                   // 000000009F6C: 7F2C4196
	v_exp_f32_e32 v151, v151                                   // 000000009F70: 7F2E4197
	v_mul_f32_e32 v150, v130, v150                             // 000000009F74: 0B2D2D82
	v_mul_f32_e32 v151, v130, v151                             // 000000009F78: 0B2F2F82
	v_add_f32_e32 v150, 0x3089705f, v150                       // 000000009F7C: 032D2CFF 3089705F
	v_add_f32_e32 v151, 0x3089705f, v151                       // 000000009F84: 032F2EFF 3089705F
	v_rcp_f32_e32 v150, v150                                   // 000000009F8C: 7F2C4596
	v_rcp_f32_e32 v151, v151                                   // 000000009F90: 7F2E4597
	v_mul_f32_e32 v150, 0x43700000, v150                       // 000000009F94: 0B2D2CFF 43700000
	v_mul_f32_e32 v151, 0x43700000, v151                       // 000000009F9C: 0B2F2EFF 43700000
	v_mov_b32_e32 v152, v151                                   // 000000009FA4: 7F300397
	v_mov_b32_e32 v153, v151                                   // 000000009FA8: 7F320397
	v_mov_b32_e32 v151, v150                                   // 000000009FAC: 7F2E0396
	v_pk_mul_f32 v[28:29], v[150:151], v[60:61]                // 000000009FB0: D3B1401C 18027996
	v_pk_mul_f32 v[30:31], v[150:151], v[62:63]                // 000000009FB8: D3B1401E 18027D96
	v_pk_mul_f32 v[32:33], v[150:151], v[64:65]                // 000000009FC0: D3B14020 18028196
	v_pk_mul_f32 v[34:35], v[150:151], v[66:67]                // 000000009FC8: D3B14022 18028596
	v_pk_mul_f32 v[36:37], v[150:151], v[68:69]                // 000000009FD0: D3B14024 18028996
	v_pk_mul_f32 v[38:39], v[150:151], v[70:71]                // 000000009FD8: D3B14026 18028D96
	v_pk_mul_f32 v[40:41], v[150:151], v[72:73]                // 000000009FE0: D3B14028 18029196
	v_pk_mul_f32 v[42:43], v[150:151], v[74:75]                // 000000009FE8: D3B1402A 18029596
	v_pk_mul_f32 v[44:45], v[152:153], v[76:77]                // 000000009FF0: D3B1402C 18029998
	v_pk_mul_f32 v[46:47], v[152:153], v[78:79]                // 000000009FF8: D3B1402E 18029D98
	v_pk_mul_f32 v[48:49], v[152:153], v[80:81]                // 00000000A000: D3B14030 1802A198
	v_pk_mul_f32 v[50:51], v[152:153], v[82:83]                // 00000000A008: D3B14032 1802A598
	v_pk_mul_f32 v[52:53], v[152:153], v[84:85]                // 00000000A010: D3B14034 1802A998
	v_pk_mul_f32 v[54:55], v[152:153], v[86:87]                // 00000000A018: D3B14036 1802AD98
	v_pk_mul_f32 v[56:57], v[152:153], v[88:89]                // 00000000A020: D3B14038 1802B198
	v_pk_mul_f32 v[58:59], v[152:153], v[90:91]                // 00000000A028: D3B1403A 1802B598
	v_cvt_pk_fp8_f32 v28, v28, v29                             // 00000000A030: D2A2001C 00023B1C
	v_cvt_pk_fp8_f32 v28, v30, v31 op_sel:[0,0,1]              // 00000000A038: D2A2401C 00023F1E
	v_cvt_pk_fp8_f32 v29, v32, v33                             // 00000000A040: D2A2001D 00024320
	v_cvt_pk_fp8_f32 v29, v34, v35 op_sel:[0,0,1]              // 00000000A048: D2A2401D 00024722
	v_cvt_pk_fp8_f32 v30, v36, v37                             // 00000000A050: D2A2001E 00024B24
	v_cvt_pk_fp8_f32 v30, v38, v39 op_sel:[0,0,1]              // 00000000A058: D2A2401E 00024F26
	v_cvt_pk_fp8_f32 v31, v40, v41                             // 00000000A060: D2A2001F 00025328
	v_cvt_pk_fp8_f32 v31, v42, v43 op_sel:[0,0,1]              // 00000000A068: D2A2401F 0002572A
	v_cvt_pk_fp8_f32 v32, v44, v45                             // 00000000A070: D2A20020 00025B2C
	v_cvt_pk_fp8_f32 v32, v46, v47 op_sel:[0,0,1]              // 00000000A078: D2A24020 00025F2E
	v_cvt_pk_fp8_f32 v33, v48, v49                             // 00000000A080: D2A20021 00026330
	v_cvt_pk_fp8_f32 v33, v50, v51 op_sel:[0,0,1]              // 00000000A088: D2A24021 00026732
	v_cvt_pk_fp8_f32 v34, v52, v53                             // 00000000A090: D2A20022 00026B34
	v_cvt_pk_fp8_f32 v34, v54, v55 op_sel:[0,0,1]              // 00000000A098: D2A24022 00026F36
	v_cvt_pk_fp8_f32 v35, v56, v57                             // 00000000A0A0: D2A20023 00027338
	v_cvt_pk_fp8_f32 v35, v58, v59 op_sel:[0,0,1]              // 00000000A0A8: D2A24023 0002773A
	ds_write_b32 v222, v28 offset:4608                         // 00000000A0B0: D81A1200 00001CDE
	ds_write_b32 v222, v29 offset:5632                         // 00000000A0B8: D81A1600 00001DDE
	ds_write_b32 v222, v30 offset:6656                         // 00000000A0C0: D81A1A00 00001EDE
	ds_write_b32 v222, v31 offset:7680                         // 00000000A0C8: D81A1E00 00001FDE
	ds_write_b32 v222, v32 offset:8704                         // 00000000A0D0: D81A2200 000020DE
	ds_write_b32 v222, v33 offset:9728                         // 00000000A0D8: D81A2600 000021DE
	ds_write_b32 v222, v34 offset:10752                        // 00000000A0E0: D81A2A00 000022DE
	ds_write_b32 v222, v35 offset:11776                        // 00000000A0E8: D81A2E00 000023DE
	v_rcp_f32_e32 v132, v150                                   // 00000000A0F0: 7F084596
	v_rcp_f32_e32 v134, v152                                   // 00000000A0F4: 7F0C4598
	v_mov_b32_e32 v133, v132                                   // 00000000A0F8: 7F0A0384
	v_mov_b32_e32 v135, v134                                   // 00000000A0FC: 7F0E0386
	v_pk_add_f32 v[108:109], v[108:109], v[92:93]              // 00000000A100: D3B2406C 1802B96C
	v_pk_add_f32 v[110:111], v[110:111], v[94:95]              // 00000000A108: D3B2406E 1802BD6E
	v_pk_add_f32 v[112:113], v[112:113], v[96:97]              // 00000000A110: D3B24070 1802C170
	v_pk_add_f32 v[114:115], v[114:115], v[98:99]              // 00000000A118: D3B24072 1802C572
	v_pk_add_f32 v[116:117], v[116:117], v[100:101]            // 00000000A120: D3B24074 1802C974
	v_pk_add_f32 v[118:119], v[118:119], v[102:103]            // 00000000A128: D3B24076 1802CD76
	v_pk_add_f32 v[120:121], v[120:121], v[104:105]            // 00000000A130: D3B24078 1802D178
	v_pk_add_f32 v[122:123], v[122:123], v[106:107]            // 00000000A138: D3B2407A 1802D57A
	s_waitcnt lgkmcnt(0)                                       // 00000000A140: BF8CC07F
	s_barrier                                                  // 00000000A144: BF8A0000
	ds_read_b128 v[28:31], v223 offset:4608                    // 00000000A148: D9FE1200 1C0000DF
	ds_read_b128 v[32:35], v223 offset:5632                    // 00000000A150: D9FE1600 200000DF
	ds_read_b128 v[36:39], v223 offset:6656                    // 00000000A158: D9FE1A00 240000DF
	ds_read_b128 v[40:43], v223 offset:7680                    // 00000000A160: D9FE1E00 280000DF
	ds_read_b128 v[44:47], v223 offset:8704                    // 00000000A168: D9FE2200 2C0000DF
	ds_read_b128 v[48:51], v223 offset:9728                    // 00000000A170: D9FE2600 300000DF
	ds_read_b128 v[52:55], v223 offset:10752                   // 00000000A178: D9FE2A00 340000DF
	ds_read_b128 v[56:59], v223 offset:11776                   // 00000000A180: D9FE2E00 380000DF
	s_waitcnt vmcnt(10)                                        // 00000000A188: BF8C0F7A
	v_lshrrev_b32_e32 v136, 4, v0                              // 00000000A18C: 21100084
	v_lshlrev_b32_e32 v136, 4, v136                            // 00000000A190: 25111084
	v_add_u32_e32 v186, s64, v136                              // 00000000A194: 69751040
	v_add_u32_e32 v186, 4, v186                                // 00000000A198: 69757484
	v_sub_i32 v186, v186, s62                                  // 00000000A19C: D29D00BA 00007DBA
	s_mov_b32 s54, 0                                           // 00000000A1A4: BEB60080
	v_add_i32 v187, s54, v186                                  // 00000000A1A8: D29C00BB 00037436
	v_cmp_lt_i32_e64 vcc, v187, 4                              // 00000000A1B0: D0C1006A 000109BB
	v_min_u32_e32 v187, 4, v187                                // 00000000A1B8: 1D777684
	v_lshlrev_b32_e32 v187, 3, v187                            // 00000000A1BC: 25777683
	v_lshrrev_b32_e64 v188, v187, -1                           // 00000000A1C0: D11000BC 000183BB
	v_accvgpr_read_b32 v189, a64                               // 00000000A1C8: D3D840BD 18000140
	v_cndmask_b32_e32 v189, 0, v189, vcc                       // 00000000A1D0: 017B7A80
	v_and_b32_e32 v189, v189, v188                             // 00000000A1D4: 277B79BD
	v_accvgpr_write_b32 a64, v189                              // 00000000A1D8: D3D94040 180001BD
	v_accvgpr_read_b32 v189, a80                               // 00000000A1E0: D3D840BD 18000150
	v_cndmask_b32_e32 v189, 0, v189, vcc                       // 00000000A1E8: 017B7A80
	v_and_b32_e32 v189, v189, v188                             // 00000000A1EC: 277B79BD
	v_accvgpr_write_b32 a80, v189                              // 00000000A1F0: D3D94050 180001BD
	s_mov_b32 s54, 4                                           // 00000000A1F8: BEB60084
	v_add_i32 v187, s54, v186                                  // 00000000A1FC: D29C00BB 00037436
	v_cmp_lt_i32_e64 vcc, v187, 4                              // 00000000A204: D0C1006A 000109BB
	v_min_u32_e32 v187, 4, v187                                // 00000000A20C: 1D777684
	v_lshlrev_b32_e32 v187, 3, v187                            // 00000000A210: 25777683
	v_lshrrev_b32_e64 v188, v187, -1                           // 00000000A214: D11000BC 000183BB
	v_accvgpr_read_b32 v189, a65                               // 00000000A21C: D3D840BD 18000141
	v_cndmask_b32_e32 v189, 0, v189, vcc                       // 00000000A224: 017B7A80
	v_and_b32_e32 v189, v189, v188                             // 00000000A228: 277B79BD
	v_accvgpr_write_b32 a65, v189                              // 00000000A22C: D3D94041 180001BD
	v_accvgpr_read_b32 v189, a81                               // 00000000A234: D3D840BD 18000151
	v_cndmask_b32_e32 v189, 0, v189, vcc                       // 00000000A23C: 017B7A80
	v_and_b32_e32 v189, v189, v188                             // 00000000A240: 277B79BD
	v_accvgpr_write_b32 a81, v189                              // 00000000A244: D3D94051 180001BD
	s_mov_b32 s54, 8                                           // 00000000A24C: BEB60088
	v_add_i32 v187, s54, v186                                  // 00000000A250: D29C00BB 00037436
	v_cmp_lt_i32_e64 vcc, v187, 4                              // 00000000A258: D0C1006A 000109BB
	v_min_u32_e32 v187, 4, v187                                // 00000000A260: 1D777684
	v_lshlrev_b32_e32 v187, 3, v187                            // 00000000A264: 25777683
	v_lshrrev_b32_e64 v188, v187, -1                           // 00000000A268: D11000BC 000183BB
	v_accvgpr_read_b32 v189, a66                               // 00000000A270: D3D840BD 18000142
	v_cndmask_b32_e32 v189, 0, v189, vcc                       // 00000000A278: 017B7A80
	v_and_b32_e32 v189, v189, v188                             // 00000000A27C: 277B79BD
	v_accvgpr_write_b32 a66, v189                              // 00000000A280: D3D94042 180001BD
	v_accvgpr_read_b32 v189, a82                               // 00000000A288: D3D840BD 18000152
	v_cndmask_b32_e32 v189, 0, v189, vcc                       // 00000000A290: 017B7A80
	v_and_b32_e32 v189, v189, v188                             // 00000000A294: 277B79BD
	v_accvgpr_write_b32 a82, v189                              // 00000000A298: D3D94052 180001BD
	s_mov_b32 s54, 12                                          // 00000000A2A0: BEB6008C
	v_add_i32 v187, s54, v186                                  // 00000000A2A4: D29C00BB 00037436
	v_cmp_lt_i32_e64 vcc, v187, 4                              // 00000000A2AC: D0C1006A 000109BB
	v_min_u32_e32 v187, 4, v187                                // 00000000A2B4: 1D777684
	v_lshlrev_b32_e32 v187, 3, v187                            // 00000000A2B8: 25777683
	v_lshrrev_b32_e64 v188, v187, -1                           // 00000000A2BC: D11000BC 000183BB
	v_accvgpr_read_b32 v189, a67                               // 00000000A2C4: D3D840BD 18000143
	v_cndmask_b32_e32 v189, 0, v189, vcc                       // 00000000A2CC: 017B7A80
	v_and_b32_e32 v189, v189, v188                             // 00000000A2D0: 277B79BD
	v_accvgpr_write_b32 a67, v189                              // 00000000A2D4: D3D94043 180001BD
	v_accvgpr_read_b32 v189, a83                               // 00000000A2DC: D3D840BD 18000153
	v_cndmask_b32_e32 v189, 0, v189, vcc                       // 00000000A2E4: 017B7A80
	v_and_b32_e32 v189, v189, v188                             // 00000000A2E8: 277B79BD
	v_accvgpr_write_b32 a83, v189                              // 00000000A2EC: D3D94053 180001BD
	s_mov_b32 s54, 64                                          // 00000000A2F4: BEB600C0
	v_add_i32 v187, s54, v186                                  // 00000000A2F8: D29C00BB 00037436
	v_cmp_lt_i32_e64 vcc, v187, 4                              // 00000000A300: D0C1006A 000109BB
	v_min_u32_e32 v187, 4, v187                                // 00000000A308: 1D777684
	v_lshlrev_b32_e32 v187, 3, v187                            // 00000000A30C: 25777683
	v_lshrrev_b32_e64 v188, v187, -1                           // 00000000A310: D11000BC 000183BB
	v_accvgpr_read_b32 v189, a68                               // 00000000A318: D3D840BD 18000144
	v_cndmask_b32_e32 v189, 0, v189, vcc                       // 00000000A320: 017B7A80
	v_and_b32_e32 v189, v189, v188                             // 00000000A324: 277B79BD
	v_accvgpr_write_b32 a68, v189                              // 00000000A328: D3D94044 180001BD
	v_accvgpr_read_b32 v189, a84                               // 00000000A330: D3D840BD 18000154
	v_cndmask_b32_e32 v189, 0, v189, vcc                       // 00000000A338: 017B7A80
	v_and_b32_e32 v189, v189, v188                             // 00000000A33C: 277B79BD
	v_accvgpr_write_b32 a84, v189                              // 00000000A340: D3D94054 180001BD
	s_mov_b32 s54, 0x44                                        // 00000000A348: BEB600FF 00000044
	v_add_i32 v187, s54, v186                                  // 00000000A350: D29C00BB 00037436
	v_cmp_lt_i32_e64 vcc, v187, 4                              // 00000000A358: D0C1006A 000109BB
	v_min_u32_e32 v187, 4, v187                                // 00000000A360: 1D777684
	v_lshlrev_b32_e32 v187, 3, v187                            // 00000000A364: 25777683
	v_lshrrev_b32_e64 v188, v187, -1                           // 00000000A368: D11000BC 000183BB
	v_accvgpr_read_b32 v189, a69                               // 00000000A370: D3D840BD 18000145
	v_cndmask_b32_e32 v189, 0, v189, vcc                       // 00000000A378: 017B7A80
	v_and_b32_e32 v189, v189, v188                             // 00000000A37C: 277B79BD
	v_accvgpr_write_b32 a69, v189                              // 00000000A380: D3D94045 180001BD
	v_accvgpr_read_b32 v189, a85                               // 00000000A388: D3D840BD 18000155
	v_cndmask_b32_e32 v189, 0, v189, vcc                       // 00000000A390: 017B7A80
	v_and_b32_e32 v189, v189, v188                             // 00000000A394: 277B79BD
	v_accvgpr_write_b32 a85, v189                              // 00000000A398: D3D94055 180001BD
	s_mov_b32 s54, 0x48                                        // 00000000A3A0: BEB600FF 00000048
	v_add_i32 v187, s54, v186                                  // 00000000A3A8: D29C00BB 00037436
	v_cmp_lt_i32_e64 vcc, v187, 4                              // 00000000A3B0: D0C1006A 000109BB
	v_min_u32_e32 v187, 4, v187                                // 00000000A3B8: 1D777684
	v_lshlrev_b32_e32 v187, 3, v187                            // 00000000A3BC: 25777683
	v_lshrrev_b32_e64 v188, v187, -1                           // 00000000A3C0: D11000BC 000183BB
	v_accvgpr_read_b32 v189, a70                               // 00000000A3C8: D3D840BD 18000146
	v_cndmask_b32_e32 v189, 0, v189, vcc                       // 00000000A3D0: 017B7A80
	v_and_b32_e32 v189, v189, v188                             // 00000000A3D4: 277B79BD
	v_accvgpr_write_b32 a70, v189                              // 00000000A3D8: D3D94046 180001BD
	v_accvgpr_read_b32 v189, a86                               // 00000000A3E0: D3D840BD 18000156
	v_cndmask_b32_e32 v189, 0, v189, vcc                       // 00000000A3E8: 017B7A80
	v_and_b32_e32 v189, v189, v188                             // 00000000A3EC: 277B79BD
	v_accvgpr_write_b32 a86, v189                              // 00000000A3F0: D3D94056 180001BD
	s_mov_b32 s54, 0x4c                                        // 00000000A3F8: BEB600FF 0000004C
	v_add_i32 v187, s54, v186                                  // 00000000A400: D29C00BB 00037436
	v_cmp_lt_i32_e64 vcc, v187, 4                              // 00000000A408: D0C1006A 000109BB
	v_min_u32_e32 v187, 4, v187                                // 00000000A410: 1D777684
	v_lshlrev_b32_e32 v187, 3, v187                            // 00000000A414: 25777683
	v_lshrrev_b32_e64 v188, v187, -1                           // 00000000A418: D11000BC 000183BB
	v_accvgpr_read_b32 v189, a71                               // 00000000A420: D3D840BD 18000147
	v_cndmask_b32_e32 v189, 0, v189, vcc                       // 00000000A428: 017B7A80
	v_and_b32_e32 v189, v189, v188                             // 00000000A42C: 277B79BD
	v_accvgpr_write_b32 a71, v189                              // 00000000A430: D3D94047 180001BD
	v_accvgpr_read_b32 v189, a87                               // 00000000A438: D3D840BD 18000157
	v_cndmask_b32_e32 v189, 0, v189, vcc                       // 00000000A440: 017B7A80
	v_and_b32_e32 v189, v189, v188                             // 00000000A444: 277B79BD
	v_accvgpr_write_b32 a87, v189                              // 00000000A448: D3D94057 180001BD
	s_mov_b32 s54, 0x80                                        // 00000000A450: BEB600FF 00000080
	v_add_i32 v187, s54, v186                                  // 00000000A458: D29C00BB 00037436
	v_cmp_lt_i32_e64 vcc, v187, 4                              // 00000000A460: D0C1006A 000109BB
	v_min_u32_e32 v187, 4, v187                                // 00000000A468: 1D777684
	v_lshlrev_b32_e32 v187, 3, v187                            // 00000000A46C: 25777683
	v_lshrrev_b32_e64 v188, v187, -1                           // 00000000A470: D11000BC 000183BB
	v_accvgpr_read_b32 v189, a72                               // 00000000A478: D3D840BD 18000148
	v_cndmask_b32_e32 v189, 0, v189, vcc                       // 00000000A480: 017B7A80
	v_and_b32_e32 v189, v189, v188                             // 00000000A484: 277B79BD
	v_accvgpr_write_b32 a72, v189                              // 00000000A488: D3D94048 180001BD
	v_accvgpr_read_b32 v189, a88                               // 00000000A490: D3D840BD 18000158
	v_cndmask_b32_e32 v189, 0, v189, vcc                       // 00000000A498: 017B7A80
	v_and_b32_e32 v189, v189, v188                             // 00000000A49C: 277B79BD
	v_accvgpr_write_b32 a88, v189                              // 00000000A4A0: D3D94058 180001BD
	s_mov_b32 s54, 0x84                                        // 00000000A4A8: BEB600FF 00000084
	v_add_i32 v187, s54, v186                                  // 00000000A4B0: D29C00BB 00037436
	v_cmp_lt_i32_e64 vcc, v187, 4                              // 00000000A4B8: D0C1006A 000109BB
	v_min_u32_e32 v187, 4, v187                                // 00000000A4C0: 1D777684
	v_lshlrev_b32_e32 v187, 3, v187                            // 00000000A4C4: 25777683
	v_lshrrev_b32_e64 v188, v187, -1                           // 00000000A4C8: D11000BC 000183BB
	v_accvgpr_read_b32 v189, a73                               // 00000000A4D0: D3D840BD 18000149
	v_cndmask_b32_e32 v189, 0, v189, vcc                       // 00000000A4D8: 017B7A80
	v_and_b32_e32 v189, v189, v188                             // 00000000A4DC: 277B79BD
	v_accvgpr_write_b32 a73, v189                              // 00000000A4E0: D3D94049 180001BD
	v_accvgpr_read_b32 v189, a89                               // 00000000A4E8: D3D840BD 18000159
	v_cndmask_b32_e32 v189, 0, v189, vcc                       // 00000000A4F0: 017B7A80
	v_and_b32_e32 v189, v189, v188                             // 00000000A4F4: 277B79BD
	v_accvgpr_write_b32 a89, v189                              // 00000000A4F8: D3D94059 180001BD
	s_mov_b32 s54, 0x88                                        // 00000000A500: BEB600FF 00000088
	v_add_i32 v187, s54, v186                                  // 00000000A508: D29C00BB 00037436
	v_cmp_lt_i32_e64 vcc, v187, 4                              // 00000000A510: D0C1006A 000109BB
	v_min_u32_e32 v187, 4, v187                                // 00000000A518: 1D777684
	v_lshlrev_b32_e32 v187, 3, v187                            // 00000000A51C: 25777683
	v_lshrrev_b32_e64 v188, v187, -1                           // 00000000A520: D11000BC 000183BB
	v_accvgpr_read_b32 v189, a74                               // 00000000A528: D3D840BD 1800014A
	v_cndmask_b32_e32 v189, 0, v189, vcc                       // 00000000A530: 017B7A80
	v_and_b32_e32 v189, v189, v188                             // 00000000A534: 277B79BD
	v_accvgpr_write_b32 a74, v189                              // 00000000A538: D3D9404A 180001BD
	v_accvgpr_read_b32 v189, a90                               // 00000000A540: D3D840BD 1800015A
	v_cndmask_b32_e32 v189, 0, v189, vcc                       // 00000000A548: 017B7A80
	v_and_b32_e32 v189, v189, v188                             // 00000000A54C: 277B79BD
	v_accvgpr_write_b32 a90, v189                              // 00000000A550: D3D9405A 180001BD
	s_mov_b32 s54, 0x8c                                        // 00000000A558: BEB600FF 0000008C
	v_add_i32 v187, s54, v186                                  // 00000000A560: D29C00BB 00037436
	v_cmp_lt_i32_e64 vcc, v187, 4                              // 00000000A568: D0C1006A 000109BB
	v_min_u32_e32 v187, 4, v187                                // 00000000A570: 1D777684
	v_lshlrev_b32_e32 v187, 3, v187                            // 00000000A574: 25777683
	v_lshrrev_b32_e64 v188, v187, -1                           // 00000000A578: D11000BC 000183BB
	v_accvgpr_read_b32 v189, a75                               // 00000000A580: D3D840BD 1800014B
	v_cndmask_b32_e32 v189, 0, v189, vcc                       // 00000000A588: 017B7A80
	v_and_b32_e32 v189, v189, v188                             // 00000000A58C: 277B79BD
	v_accvgpr_write_b32 a75, v189                              // 00000000A590: D3D9404B 180001BD
	v_accvgpr_read_b32 v189, a91                               // 00000000A598: D3D840BD 1800015B
	v_cndmask_b32_e32 v189, 0, v189, vcc                       // 00000000A5A0: 017B7A80
	v_and_b32_e32 v189, v189, v188                             // 00000000A5A4: 277B79BD
	v_accvgpr_write_b32 a91, v189                              // 00000000A5A8: D3D9405B 180001BD
	s_mov_b32 s54, 0xc0                                        // 00000000A5B0: BEB600FF 000000C0
	v_add_i32 v187, s54, v186                                  // 00000000A5B8: D29C00BB 00037436
	v_cmp_lt_i32_e64 vcc, v187, 4                              // 00000000A5C0: D0C1006A 000109BB
	v_min_u32_e32 v187, 4, v187                                // 00000000A5C8: 1D777684
	v_lshlrev_b32_e32 v187, 3, v187                            // 00000000A5CC: 25777683
	v_lshrrev_b32_e64 v188, v187, -1                           // 00000000A5D0: D11000BC 000183BB
	v_accvgpr_read_b32 v189, a76                               // 00000000A5D8: D3D840BD 1800014C
	v_cndmask_b32_e32 v189, 0, v189, vcc                       // 00000000A5E0: 017B7A80
	v_and_b32_e32 v189, v189, v188                             // 00000000A5E4: 277B79BD
	v_accvgpr_write_b32 a76, v189                              // 00000000A5E8: D3D9404C 180001BD
	v_accvgpr_read_b32 v189, a92                               // 00000000A5F0: D3D840BD 1800015C
	v_cndmask_b32_e32 v189, 0, v189, vcc                       // 00000000A5F8: 017B7A80
	v_and_b32_e32 v189, v189, v188                             // 00000000A5FC: 277B79BD
	v_accvgpr_write_b32 a92, v189                              // 00000000A600: D3D9405C 180001BD
	s_mov_b32 s54, 0xc4                                        // 00000000A608: BEB600FF 000000C4
	v_add_i32 v187, s54, v186                                  // 00000000A610: D29C00BB 00037436
	v_cmp_lt_i32_e64 vcc, v187, 4                              // 00000000A618: D0C1006A 000109BB
	v_min_u32_e32 v187, 4, v187                                // 00000000A620: 1D777684
	v_lshlrev_b32_e32 v187, 3, v187                            // 00000000A624: 25777683
	v_lshrrev_b32_e64 v188, v187, -1                           // 00000000A628: D11000BC 000183BB
	v_accvgpr_read_b32 v189, a77                               // 00000000A630: D3D840BD 1800014D
	v_cndmask_b32_e32 v189, 0, v189, vcc                       // 00000000A638: 017B7A80
	v_and_b32_e32 v189, v189, v188                             // 00000000A63C: 277B79BD
	v_accvgpr_write_b32 a77, v189                              // 00000000A640: D3D9404D 180001BD
	v_accvgpr_read_b32 v189, a93                               // 00000000A648: D3D840BD 1800015D
	v_cndmask_b32_e32 v189, 0, v189, vcc                       // 00000000A650: 017B7A80
	v_and_b32_e32 v189, v189, v188                             // 00000000A654: 277B79BD
	v_accvgpr_write_b32 a93, v189                              // 00000000A658: D3D9405D 180001BD
	s_mov_b32 s54, 0xc8                                        // 00000000A660: BEB600FF 000000C8
	v_add_i32 v187, s54, v186                                  // 00000000A668: D29C00BB 00037436
	v_cmp_lt_i32_e64 vcc, v187, 4                              // 00000000A670: D0C1006A 000109BB
	v_min_u32_e32 v187, 4, v187                                // 00000000A678: 1D777684
	v_lshlrev_b32_e32 v187, 3, v187                            // 00000000A67C: 25777683
	v_lshrrev_b32_e64 v188, v187, -1                           // 00000000A680: D11000BC 000183BB
	v_accvgpr_read_b32 v189, a78                               // 00000000A688: D3D840BD 1800014E
	v_cndmask_b32_e32 v189, 0, v189, vcc                       // 00000000A690: 017B7A80
	v_and_b32_e32 v189, v189, v188                             // 00000000A694: 277B79BD
	v_accvgpr_write_b32 a78, v189                              // 00000000A698: D3D9404E 180001BD
	v_accvgpr_read_b32 v189, a94                               // 00000000A6A0: D3D840BD 1800015E
	v_cndmask_b32_e32 v189, 0, v189, vcc                       // 00000000A6A8: 017B7A80
	v_and_b32_e32 v189, v189, v188                             // 00000000A6AC: 277B79BD
	v_accvgpr_write_b32 a94, v189                              // 00000000A6B0: D3D9405E 180001BD
	s_mov_b32 s54, 0xcc                                        // 00000000A6B8: BEB600FF 000000CC
	v_add_i32 v187, s54, v186                                  // 00000000A6C0: D29C00BB 00037436
	v_cmp_lt_i32_e64 vcc, v187, 4                              // 00000000A6C8: D0C1006A 000109BB
	v_min_u32_e32 v187, 4, v187                                // 00000000A6D0: 1D777684
	v_lshlrev_b32_e32 v187, 3, v187                            // 00000000A6D4: 25777683
	v_lshrrev_b32_e64 v188, v187, -1                           // 00000000A6D8: D11000BC 000183BB
	v_accvgpr_read_b32 v189, a79                               // 00000000A6E0: D3D840BD 1800014F
	v_cndmask_b32_e32 v189, 0, v189, vcc                       // 00000000A6E8: 017B7A80
	v_and_b32_e32 v189, v189, v188                             // 00000000A6EC: 277B79BD
	v_accvgpr_write_b32 a79, v189                              // 00000000A6F0: D3D9404F 180001BD
	v_accvgpr_read_b32 v189, a95                               // 00000000A6F8: D3D840BD 1800015F
	v_cndmask_b32_e32 v189, 0, v189, vcc                       // 00000000A700: 017B7A80
	v_and_b32_e32 v189, v189, v188                             // 00000000A704: 277B79BD
	v_accvgpr_write_b32 a95, v189                              // 00000000A708: D3D9405F 180001BD
	s_waitcnt lgkmcnt(7)                                       // 00000000A710: BF8CC77F
	v_mfma_f32_16x16x32_fp8_fp8 v[92:95], a[64:65], v[28:29], 0// 00000000A714: D3F3005C 0A023940
	s_lshl_b32 s68, s76, 2                                     // 00000000A71C: 8E44824C
	v_mfma_f32_16x16x32_fp8_fp8 v[96:99], a[80:81], v[28:29], 0// 00000000A720: D3F30060 0A023950
	s_cmp_lt_u32 s76, s77                                      // 00000000A728: BF0A4D4C
	s_cselect_b32 s68, s68, 0                                  // 00000000A72C: 85448044
	v_mfma_f32_16x16x32_fp8_fp8 v[92:95], a[66:67], v[30:31], v[92:95]// 00000000A730: D3F3005C 0D723D42
	buffer_load_dwordx4 a[96:99], v204, s[16:19], 0 offen      // 00000000A738: E05C1000 808460CC
	v_mfma_f32_16x16x32_fp8_fp8 v[96:99], a[82:83], v[30:31], v[96:99]// 00000000A740: D3F30060 0D823D52
	s_addk_i32 s76, 0x1                                        // 00000000A748: B74C0001
	s_waitcnt lgkmcnt(6)                                       // 00000000A74C: BF8CC67F
	v_mfma_f32_16x16x32_fp8_fp8 v[92:95], a[68:69], v[32:33], v[92:95]// 00000000A750: D3F3005C 0D724144
	v_mfma_f32_16x16x32_fp8_fp8 v[96:99], a[84:85], v[32:33], v[96:99]// 00000000A758: D3F30060 0D824154
	v_mfma_f32_16x16x32_fp8_fp8 v[92:95], a[70:71], v[34:35], v[92:95]// 00000000A760: D3F3005C 0D724546
	buffer_load_dwordx4 a[100:103], v205, s[16:19], 0 offen    // 00000000A768: E05C1000 808464CD
	v_mfma_f32_16x16x32_fp8_fp8 v[96:99], a[86:87], v[34:35], v[96:99]// 00000000A770: D3F30060 0D824556
	s_waitcnt lgkmcnt(5)                                       // 00000000A778: BF8CC57F
	v_mfma_f32_16x16x32_fp8_fp8 v[92:95], a[72:73], v[36:37], v[92:95]// 00000000A77C: D3F3005C 0D724948
	v_mfma_f32_16x16x32_fp8_fp8 v[96:99], a[88:89], v[36:37], v[96:99]// 00000000A784: D3F30060 0D824958
	v_mfma_f32_16x16x32_fp8_fp8 v[92:95], a[74:75], v[38:39], v[92:95]// 00000000A78C: D3F3005C 0D724D4A
	buffer_load_dwordx4 a[104:107], v206, s[16:19], 0 offen    // 00000000A794: E05C1000 808468CE
	v_mfma_f32_16x16x32_fp8_fp8 v[96:99], a[90:91], v[38:39], v[96:99]// 00000000A79C: D3F30060 0D824D5A
	s_waitcnt lgkmcnt(4)                                       // 00000000A7A4: BF8CC47F
	v_mfma_f32_16x16x32_fp8_fp8 v[92:95], a[76:77], v[40:41], v[92:95]// 00000000A7A8: D3F3005C 0D72514C
	v_mfma_f32_16x16x32_fp8_fp8 v[96:99], a[92:93], v[40:41], v[96:99]// 00000000A7B0: D3F30060 0D82515C
	v_mfma_f32_16x16x32_fp8_fp8 v[92:95], a[78:79], v[42:43], v[92:95]// 00000000A7B8: D3F3005C 0D72554E
	buffer_load_dwordx4 a[108:111], v207, s[16:19], 0 offen    // 00000000A7C0: E05C1000 80846CCF
	v_mfma_f32_16x16x32_fp8_fp8 v[96:99], a[94:95], v[42:43], v[96:99]// 00000000A7C8: D3F30060 0D82555E
	s_waitcnt lgkmcnt(3)                                       // 00000000A7D0: BF8CC37F
	v_mfma_f32_16x16x32_fp8_fp8 v[100:103], a[64:65], v[44:45], 0// 00000000A7D4: D3F30064 0A025940
	v_mfma_f32_16x16x32_fp8_fp8 v[104:107], a[80:81], v[44:45], 0// 00000000A7DC: D3F30068 0A025950
	v_mfma_f32_16x16x32_fp8_fp8 v[100:103], a[66:67], v[46:47], v[100:103]// 00000000A7E4: D3F30064 0D925D42
	buffer_load_dwordx4 a[112:115], v204, s[16:19], 0 offen offset:1024// 00000000A7EC: E05C1400 808470CC
	v_mfma_f32_16x16x32_fp8_fp8 v[104:107], a[82:83], v[46:47], v[104:107]// 00000000A7F4: D3F30068 0DA25D52
	s_waitcnt lgkmcnt(2)                                       // 00000000A7FC: BF8CC27F
	v_mfma_f32_16x16x32_fp8_fp8 v[100:103], a[68:69], v[48:49], v[100:103]// 00000000A800: D3F30064 0D926144
	v_mfma_f32_16x16x32_fp8_fp8 v[104:107], a[84:85], v[48:49], v[104:107]// 00000000A808: D3F30068 0DA26154
	v_mfma_f32_16x16x32_fp8_fp8 v[100:103], a[70:71], v[50:51], v[100:103]// 00000000A810: D3F30064 0D926546
	buffer_load_dwordx4 a[116:119], v205, s[16:19], 0 offen offset:1024// 00000000A818: E05C1400 808474CD
	v_mfma_f32_16x16x32_fp8_fp8 v[104:107], a[86:87], v[50:51], v[104:107]// 00000000A820: D3F30068 0DA26556
	s_waitcnt lgkmcnt(1)                                       // 00000000A828: BF8CC17F
	v_mfma_f32_16x16x32_fp8_fp8 v[100:103], a[72:73], v[52:53], v[100:103]// 00000000A82C: D3F30064 0D926948
	v_mfma_f32_16x16x32_fp8_fp8 v[104:107], a[88:89], v[52:53], v[104:107]// 00000000A834: D3F30068 0DA26958
	v_mfma_f32_16x16x32_fp8_fp8 v[100:103], a[74:75], v[54:55], v[100:103]// 00000000A83C: D3F30064 0D926D4A
	buffer_load_dwordx4 a[120:123], v206, s[16:19], 0 offen offset:1024// 00000000A844: E05C1400 808478CE
	v_mfma_f32_16x16x32_fp8_fp8 v[104:107], a[90:91], v[54:55], v[104:107]// 00000000A84C: D3F30068 0DA26D5A
	s_waitcnt lgkmcnt(0)                                       // 00000000A854: BF8CC07F
	v_mfma_f32_16x16x32_fp8_fp8 v[100:103], a[76:77], v[56:57], v[100:103]// 00000000A858: D3F30064 0D92714C
	v_mfma_f32_16x16x32_fp8_fp8 v[104:107], a[92:93], v[56:57], v[104:107]// 00000000A860: D3F30068 0DA2715C
	v_mfma_f32_16x16x32_fp8_fp8 v[100:103], a[78:79], v[58:59], v[100:103]// 00000000A868: D3F30064 0D92754E
	buffer_load_dwordx4 a[124:127], v207, s[16:19], 0 offen offset:1024// 00000000A870: E05C1400 80847CCF
	v_mfma_f32_16x16x32_fp8_fp8 v[104:107], a[94:95], v[58:59], v[104:107]// 00000000A878: D3F30068 0DA2755E
	s_load_dword s59, s[42:43], s68                            // 00000000A880: C0000ED5 00000044
	s_addk_i32 s64, 0x100                                      // 00000000A888: B7400100

000000000000a88c <label_20A3>:
	s_cmp_lt_i32 s64, s62                                      // 00000000A88C: BF043E40
	s_cbranch_scc0 label_313C                                  // 00000000A890: BF841097
	s_waitcnt vmcnt(10)                                        // 00000000A894: BF8C0F7A
	v_mfma_f32_16x16x32_fp8_fp8 v[28:31], a[32:33], v[12:13], 0// 00000000A898: D3F3001C 0A021920
	s_add_u32 s12, s86, s69                                    // 00000000A8A0: 800C4556
	s_addc_u32 s13, s87, 0                                     // 00000000A8A4: 820D8057
	v_mfma_f32_16x16x32_fp8_fp8 v[28:31], a[34:35], v[14:15], v[28:31]// 00000000A8A8: D3F3001C 0C721D22
	s_add_u32 s16, s88, s70                                    // 00000000A8B0: 80104658
	s_addc_u32 s17, s89, 0                                     // 00000000A8B4: 82118059
	v_mfma_f32_16x16x32_fp8_fp8 v[28:31], a[36:37], v[16:17], v[28:31]// 00000000A8B8: D3F3001C 0C722124
	buffer_load_dwordx4 a[0:3], v202, s[12:15], 0 offen        // 00000000A8C0: E05C1000 808300CA
	v_mfma_f32_16x16x32_fp8_fp8 v[28:31], a[38:39], v[18:19], v[28:31]// 00000000A8C8: D3F3001C 0C722526
	s_add_u32 s20, s90, s71                                    // 00000000A8D0: 8014475A
	s_addc_u32 s21, s91, 0                                     // 00000000A8D4: 8215805B
	v_mfma_f32_16x16x32_fp8_fp8 v[32:35], a[40:41], v[12:13], 0// 00000000A8D8: D3F30020 0A021928
	s_add_u32 s24, s92, s71                                    // 00000000A8E0: 8018475C
	s_addc_u32 s25, s93, 0                                     // 00000000A8E4: 8219805D
	v_mfma_f32_16x16x32_fp8_fp8 v[32:35], a[42:43], v[14:15], v[32:35]// 00000000A8E8: D3F30020 0C821D2A
	s_add_u32 s69, s69, 0x1000                                 // 00000000A8F0: 8045FF45 00001000
	s_add_u32 s70, s70, 0x8000                                 // 00000000A8F8: 8046FF46 00008000
	v_mfma_f32_16x16x32_fp8_fp8 v[32:35], a[44:45], v[16:17], v[32:35]// 00000000A900: D3F30020 0C82212C
	buffer_load_dwordx4 a[4:7], v203, s[12:15], 0 offen        // 00000000A908: E05C1000 808304CB
	v_mfma_f32_16x16x32_fp8_fp8 v[32:35], a[46:47], v[18:19], v[32:35]// 00000000A910: D3F30020 0C82252E
	v_mfma_f32_16x16x32_fp8_fp8 v[36:39], a[48:49], v[12:13], 0// 00000000A918: D3F30024 0A021930
	v_mfma_f32_16x16x32_fp8_fp8 v[36:39], a[50:51], v[14:15], v[36:39]// 00000000A920: D3F30024 0C921D32
	v_mfma_f32_16x16x32_fp8_fp8 v[36:39], a[52:53], v[16:17], v[36:39]// 00000000A928: D3F30024 0C922134
	buffer_load_dwordx4 a[8:11], v202, s[12:15], 0 offen offset:1024// 00000000A930: E05C1400 808308CA
	v_mfma_f32_16x16x32_fp8_fp8 v[36:39], a[54:55], v[18:19], v[36:39]// 00000000A938: D3F30024 0C922536
	v_mfma_f32_16x16x32_fp8_fp8 v[40:43], a[56:57], v[12:13], 0// 00000000A940: D3F30028 0A021938
	v_mfma_f32_16x16x32_fp8_fp8 v[40:43], a[58:59], v[14:15], v[40:43]// 00000000A948: D3F30028 0CA21D3A
	v_mfma_f32_16x16x32_fp8_fp8 v[40:43], a[60:61], v[16:17], v[40:43]// 00000000A950: D3F30028 0CA2213C
	buffer_load_dwordx4 a[12:15], v203, s[12:15], 0 offen offset:1024// 00000000A958: E05C1400 80830CCB
	v_mfma_f32_16x16x32_fp8_fp8 v[40:43], a[62:63], v[18:19], v[40:43]// 00000000A960: D3F30028 0CA2253E
	v_mfma_f32_16x16x32_fp8_fp8 v[44:47], a[32:33], v[20:21], 0// 00000000A968: D3F3002C 0A022920
	v_mfma_f32_16x16x32_fp8_fp8 v[44:47], a[34:35], v[22:23], v[44:47]// 00000000A970: D3F3002C 0CB22D22
	v_mfma_f32_16x16x32_fp8_fp8 v[44:47], a[36:37], v[24:25], v[44:47]// 00000000A978: D3F3002C 0CB23124
	buffer_load_dwordx4 a[16:19], v202, s[12:15], 0 offen offset:2048// 00000000A980: E05C1800 808310CA
	v_mfma_f32_16x16x32_fp8_fp8 v[44:47], a[38:39], v[26:27], v[44:47]// 00000000A988: D3F3002C 0CB23526
	v_mfma_f32_16x16x32_fp8_fp8 v[48:51], a[40:41], v[20:21], 0// 00000000A990: D3F30030 0A022928
	v_mfma_f32_16x16x32_fp8_fp8 v[48:51], a[42:43], v[22:23], v[48:51]// 00000000A998: D3F30030 0CC22D2A
	v_mfma_f32_16x16x32_fp8_fp8 v[48:51], a[44:45], v[24:25], v[48:51]// 00000000A9A0: D3F30030 0CC2312C
	buffer_load_dwordx4 a[20:23], v203, s[12:15], 0 offen offset:2048// 00000000A9A8: E05C1800 808314CB
	v_mfma_f32_16x16x32_fp8_fp8 v[48:51], a[46:47], v[26:27], v[48:51]// 00000000A9B0: D3F30030 0CC2352E
	v_mfma_f32_16x16x32_fp8_fp8 v[52:55], a[48:49], v[20:21], 0// 00000000A9B8: D3F30034 0A022930
	v_mfma_f32_16x16x32_fp8_fp8 v[52:55], a[50:51], v[22:23], v[52:55]// 00000000A9C0: D3F30034 0CD22D32
	v_mfma_f32_16x16x32_fp8_fp8 v[52:55], a[52:53], v[24:25], v[52:55]// 00000000A9C8: D3F30034 0CD23134
	buffer_load_dwordx4 a[24:27], v202, s[12:15], 0 offen offset:3072// 00000000A9D0: E05C1C00 808318CA
	v_mfma_f32_16x16x32_fp8_fp8 v[52:55], a[54:55], v[26:27], v[52:55]// 00000000A9D8: D3F30034 0CD23536
	v_mfma_f32_16x16x32_fp8_fp8 v[56:59], a[56:57], v[20:21], 0// 00000000A9E0: D3F30038 0A022938
	v_mfma_f32_16x16x32_fp8_fp8 v[56:59], a[58:59], v[22:23], v[56:59]// 00000000A9E8: D3F30038 0CE22D3A
	v_mfma_f32_16x16x32_fp8_fp8 v[56:59], a[60:61], v[24:25], v[56:59]// 00000000A9F0: D3F30038 0CE2313C
	buffer_load_dwordx4 a[28:31], v203, s[12:15], 0 offen offset:3072// 00000000A9F8: E05C1C00 80831CCB
	v_mfma_f32_16x16x32_fp8_fp8 v[56:59], a[62:63], v[26:27], v[56:59]// 00000000AA00: D3F30038 0CE2353E
	s_waitcnt vmcnt(16)                                        // 00000000AA08: BF8C4F70
	v_pk_mul_f32 v[28:29], v[124:125], v[28:29]                // 00000000AA0C: D3B1401C 1802397C
	v_pk_mul_f32 v[30:31], v[124:125], v[30:31]                // 00000000AA14: D3B1401E 18023D7C
	v_mul_f32_dpp v28, v129, v28 row_newbcast:0 row_mask:0xf bank_mask:0xf// 00000000AA1C: 0A3838FA FF015081
	v_mul_f32_dpp v29, v129, v29 row_newbcast:1 row_mask:0xf bank_mask:0xf// 00000000AA24: 0A3A3AFA FF015181
	v_mul_f32_dpp v30, v129, v30 row_newbcast:2 row_mask:0xf bank_mask:0xf// 00000000AA2C: 0A3C3CFA FF015281
	v_mul_f32_dpp v31, v129, v31 row_newbcast:3 row_mask:0xf bank_mask:0xf// 00000000AA34: 0A3E3EFA FF015381
	v_pk_mul_f32 v[32:33], v[124:125], v[32:33]                // 00000000AA3C: D3B14020 1802417C
	v_pk_mul_f32 v[34:35], v[124:125], v[34:35]                // 00000000AA44: D3B14022 1802457C
	v_mul_f32_dpp v32, v129, v32 row_newbcast:4 row_mask:0xf bank_mask:0xf// 00000000AA4C: 0A4040FA FF015481
	v_mul_f32_dpp v33, v129, v33 row_newbcast:5 row_mask:0xf bank_mask:0xf// 00000000AA54: 0A4242FA FF015581
	v_mul_f32_dpp v34, v129, v34 row_newbcast:6 row_mask:0xf bank_mask:0xf// 00000000AA5C: 0A4444FA FF015681
	v_mul_f32_dpp v35, v129, v35 row_newbcast:7 row_mask:0xf bank_mask:0xf// 00000000AA64: 0A4646FA FF015781
	v_pk_mul_f32 v[36:37], v[124:125], v[36:37]                // 00000000AA6C: D3B14024 1802497C
	v_pk_mul_f32 v[38:39], v[124:125], v[38:39]                // 00000000AA74: D3B14026 18024D7C
	v_mul_f32_dpp v36, v129, v36 row_newbcast:8 row_mask:0xf bank_mask:0xf// 00000000AA7C: 0A4848FA FF015881
	v_mul_f32_dpp v37, v129, v37 row_newbcast:9 row_mask:0xf bank_mask:0xf// 00000000AA84: 0A4A4AFA FF015981
	v_mul_f32_dpp v38, v129, v38 row_newbcast:10 row_mask:0xf bank_mask:0xf// 00000000AA8C: 0A4C4CFA FF015A81
	v_mul_f32_dpp v39, v129, v39 row_newbcast:11 row_mask:0xf bank_mask:0xf// 00000000AA94: 0A4E4EFA FF015B81
	v_pk_mul_f32 v[40:41], v[124:125], v[40:41]                // 00000000AA9C: D3B14028 1802517C
	v_pk_mul_f32 v[42:43], v[124:125], v[42:43]                // 00000000AAA4: D3B1402A 1802557C
	v_mul_f32_dpp v40, v129, v40 row_newbcast:12 row_mask:0xf bank_mask:0xf// 00000000AAAC: 0A5050FA FF015C81
	v_mul_f32_dpp v41, v129, v41 row_newbcast:13 row_mask:0xf bank_mask:0xf// 00000000AAB4: 0A5252FA FF015D81
	v_mul_f32_dpp v42, v129, v42 row_newbcast:14 row_mask:0xf bank_mask:0xf// 00000000AABC: 0A5454FA FF015E81
	v_mul_f32_dpp v43, v129, v43 row_newbcast:15 row_mask:0xf bank_mask:0xf// 00000000AAC4: 0A5656FA FF015F81
	v_pk_mul_f32 v[44:45], v[126:127], v[44:45]                // 00000000AACC: D3B1402C 1802597E
	v_pk_mul_f32 v[46:47], v[126:127], v[46:47]                // 00000000AAD4: D3B1402E 18025D7E
	v_mul_f32_dpp v44, v129, v44 row_newbcast:0 row_mask:0xf bank_mask:0xf// 00000000AADC: 0A5858FA FF015081
	v_mul_f32_dpp v45, v129, v45 row_newbcast:1 row_mask:0xf bank_mask:0xf// 00000000AAE4: 0A5A5AFA FF015181
	v_mul_f32_dpp v46, v129, v46 row_newbcast:2 row_mask:0xf bank_mask:0xf// 00000000AAEC: 0A5C5CFA FF015281
	v_mul_f32_dpp v47, v129, v47 row_newbcast:3 row_mask:0xf bank_mask:0xf// 00000000AAF4: 0A5E5EFA FF015381
	v_pk_mul_f32 v[48:49], v[126:127], v[48:49]                // 00000000AAFC: D3B14030 1802617E
	v_pk_mul_f32 v[50:51], v[126:127], v[50:51]                // 00000000AB04: D3B14032 1802657E
	v_mul_f32_dpp v48, v129, v48 row_newbcast:4 row_mask:0xf bank_mask:0xf// 00000000AB0C: 0A6060FA FF015481
	v_mul_f32_dpp v49, v129, v49 row_newbcast:5 row_mask:0xf bank_mask:0xf// 00000000AB14: 0A6262FA FF015581
	v_mul_f32_dpp v50, v129, v50 row_newbcast:6 row_mask:0xf bank_mask:0xf// 00000000AB1C: 0A6464FA FF015681
	v_mul_f32_dpp v51, v129, v51 row_newbcast:7 row_mask:0xf bank_mask:0xf// 00000000AB24: 0A6666FA FF015781
	v_pk_mul_f32 v[52:53], v[126:127], v[52:53]                // 00000000AB2C: D3B14034 1802697E
	v_pk_mul_f32 v[54:55], v[126:127], v[54:55]                // 00000000AB34: D3B14036 18026D7E
	v_mul_f32_dpp v52, v129, v52 row_newbcast:8 row_mask:0xf bank_mask:0xf// 00000000AB3C: 0A6868FA FF015881
	v_mul_f32_dpp v53, v129, v53 row_newbcast:9 row_mask:0xf bank_mask:0xf// 00000000AB44: 0A6A6AFA FF015981
	v_mul_f32_dpp v54, v129, v54 row_newbcast:10 row_mask:0xf bank_mask:0xf// 00000000AB4C: 0A6C6CFA FF015A81
	v_mul_f32_dpp v55, v129, v55 row_newbcast:11 row_mask:0xf bank_mask:0xf// 00000000AB54: 0A6E6EFA FF015B81
	v_pk_mul_f32 v[56:57], v[126:127], v[56:57]                // 00000000AB5C: D3B14038 1802717E
	v_pk_mul_f32 v[58:59], v[126:127], v[58:59]                // 00000000AB64: D3B1403A 1802757E
	v_mul_f32_dpp v56, v129, v56 row_newbcast:12 row_mask:0xf bank_mask:0xf// 00000000AB6C: 0A7070FA FF015C81
	v_mul_f32_dpp v57, v129, v57 row_newbcast:13 row_mask:0xf bank_mask:0xf// 00000000AB74: 0A7272FA FF015D81
	v_mul_f32_dpp v58, v129, v58 row_newbcast:14 row_mask:0xf bank_mask:0xf// 00000000AB7C: 0A7474FA FF015E81
	v_mul_f32_dpp v59, v129, v59 row_newbcast:15 row_mask:0xf bank_mask:0xf// 00000000AB84: 0A7676FA FF015F81
	v_add_u32_e32 v186, s64, v196                              // 00000000AB8C: 69758840
	v_add_u32_e32 v187, 0, v186                                // 00000000AB90: 69777480
	v_cmp_lt_u32_e64 s[98:99], v187, v194                      // 00000000AB94: D0C90062 000385BB
	s_nop 0                                                    // 00000000AB9C: BF800000
	v_cndmask_b32_e64 v28, v197, v28, s[98:99]                 // 00000000ABA0: D100001C 018A39C5
	v_add_u32_e32 v187, 1, v186                                // 00000000ABA8: 69777481
	v_cmp_lt_u32_e64 s[98:99], v187, v194                      // 00000000ABAC: D0C90062 000385BB
	s_nop 0                                                    // 00000000ABB4: BF800000
	v_cndmask_b32_e64 v29, v197, v29, s[98:99]                 // 00000000ABB8: D100001D 018A3BC5
	v_add_u32_e32 v187, 2, v186                                // 00000000ABC0: 69777482
	v_cmp_lt_u32_e64 s[98:99], v187, v194                      // 00000000ABC4: D0C90062 000385BB
	s_nop 0                                                    // 00000000ABCC: BF800000
	v_cndmask_b32_e64 v30, v197, v30, s[98:99]                 // 00000000ABD0: D100001E 018A3DC5
	v_add_u32_e32 v187, 3, v186                                // 00000000ABD8: 69777483
	v_cmp_lt_u32_e64 s[98:99], v187, v194                      // 00000000ABDC: D0C90062 000385BB
	s_nop 0                                                    // 00000000ABE4: BF800000
	v_cndmask_b32_e64 v31, v197, v31, s[98:99]                 // 00000000ABE8: D100001F 018A3FC5
	v_add_u32_e32 v187, 64, v186                               // 00000000ABF0: 697774C0
	v_cmp_lt_u32_e64 s[98:99], v187, v194                      // 00000000ABF4: D0C90062 000385BB
	s_nop 0                                                    // 00000000ABFC: BF800000
	v_cndmask_b32_e64 v32, v197, v32, s[98:99]                 // 00000000AC00: D1000020 018A41C5
	v_add_u32_e32 v187, 0x41, v186                             // 00000000AC08: 697774FF 00000041
	v_cmp_lt_u32_e64 s[98:99], v187, v194                      // 00000000AC10: D0C90062 000385BB
	s_nop 0                                                    // 00000000AC18: BF800000
	v_cndmask_b32_e64 v33, v197, v33, s[98:99]                 // 00000000AC1C: D1000021 018A43C5
	v_add_u32_e32 v187, 0x42, v186                             // 00000000AC24: 697774FF 00000042
	v_cmp_lt_u32_e64 s[98:99], v187, v194                      // 00000000AC2C: D0C90062 000385BB
	s_nop 0                                                    // 00000000AC34: BF800000
	v_cndmask_b32_e64 v34, v197, v34, s[98:99]                 // 00000000AC38: D1000022 018A45C5
	v_add_u32_e32 v187, 0x43, v186                             // 00000000AC40: 697774FF 00000043
	v_cmp_lt_u32_e64 s[98:99], v187, v194                      // 00000000AC48: D0C90062 000385BB
	s_nop 0                                                    // 00000000AC50: BF800000
	v_cndmask_b32_e64 v35, v197, v35, s[98:99]                 // 00000000AC54: D1000023 018A47C5
	v_add_u32_e32 v187, 0x80, v186                             // 00000000AC5C: 697774FF 00000080
	v_cmp_lt_u32_e64 s[98:99], v187, v194                      // 00000000AC64: D0C90062 000385BB
	s_nop 0                                                    // 00000000AC6C: BF800000
	v_cndmask_b32_e64 v36, v197, v36, s[98:99]                 // 00000000AC70: D1000024 018A49C5
	v_add_u32_e32 v187, 0x81, v186                             // 00000000AC78: 697774FF 00000081
	v_cmp_lt_u32_e64 s[98:99], v187, v194                      // 00000000AC80: D0C90062 000385BB
	s_nop 0                                                    // 00000000AC88: BF800000
	v_cndmask_b32_e64 v37, v197, v37, s[98:99]                 // 00000000AC8C: D1000025 018A4BC5
	v_add_u32_e32 v187, 0x82, v186                             // 00000000AC94: 697774FF 00000082
	v_cmp_lt_u32_e64 s[98:99], v187, v194                      // 00000000AC9C: D0C90062 000385BB
	s_nop 0                                                    // 00000000ACA4: BF800000
	v_cndmask_b32_e64 v38, v197, v38, s[98:99]                 // 00000000ACA8: D1000026 018A4DC5
	v_add_u32_e32 v187, 0x83, v186                             // 00000000ACB0: 697774FF 00000083
	v_cmp_lt_u32_e64 s[98:99], v187, v194                      // 00000000ACB8: D0C90062 000385BB
	s_nop 0                                                    // 00000000ACC0: BF800000
	v_cndmask_b32_e64 v39, v197, v39, s[98:99]                 // 00000000ACC4: D1000027 018A4FC5
	v_add_u32_e32 v187, 0xc0, v186                             // 00000000ACCC: 697774FF 000000C0
	v_cmp_lt_u32_e64 s[98:99], v187, v194                      // 00000000ACD4: D0C90062 000385BB
	s_nop 0                                                    // 00000000ACDC: BF800000
	v_cndmask_b32_e64 v40, v197, v40, s[98:99]                 // 00000000ACE0: D1000028 018A51C5
	v_add_u32_e32 v187, 0xc1, v186                             // 00000000ACE8: 697774FF 000000C1
	v_cmp_lt_u32_e64 s[98:99], v187, v194                      // 00000000ACF0: D0C90062 000385BB
	s_nop 0                                                    // 00000000ACF8: BF800000
	v_cndmask_b32_e64 v41, v197, v41, s[98:99]                 // 00000000ACFC: D1000029 018A53C5
	v_add_u32_e32 v187, 0xc2, v186                             // 00000000AD04: 697774FF 000000C2
	v_cmp_lt_u32_e64 s[98:99], v187, v194                      // 00000000AD0C: D0C90062 000385BB
	s_nop 0                                                    // 00000000AD14: BF800000
	v_cndmask_b32_e64 v42, v197, v42, s[98:99]                 // 00000000AD18: D100002A 018A55C5
	v_add_u32_e32 v187, 0xc3, v186                             // 00000000AD20: 697774FF 000000C3
	v_cmp_lt_u32_e64 s[98:99], v187, v194                      // 00000000AD28: D0C90062 000385BB
	s_nop 0                                                    // 00000000AD30: BF800000
	v_cndmask_b32_e64 v43, v197, v43, s[98:99]                 // 00000000AD34: D100002B 018A57C5
	v_add_u32_e32 v187, 0, v186                                // 00000000AD3C: 69777480
	v_cmp_lt_u32_e64 s[98:99], v187, v195                      // 00000000AD40: D0C90062 000387BB
	s_nop 0                                                    // 00000000AD48: BF800000
	v_cndmask_b32_e64 v44, v197, v44, s[98:99]                 // 00000000AD4C: D100002C 018A59C5
	v_add_u32_e32 v187, 1, v186                                // 00000000AD54: 69777481
	v_cmp_lt_u32_e64 s[98:99], v187, v195                      // 00000000AD58: D0C90062 000387BB
	s_nop 0                                                    // 00000000AD60: BF800000
	v_cndmask_b32_e64 v45, v197, v45, s[98:99]                 // 00000000AD64: D100002D 018A5BC5
	v_add_u32_e32 v187, 2, v186                                // 00000000AD6C: 69777482
	v_cmp_lt_u32_e64 s[98:99], v187, v195                      // 00000000AD70: D0C90062 000387BB
	s_nop 0                                                    // 00000000AD78: BF800000
	v_cndmask_b32_e64 v46, v197, v46, s[98:99]                 // 00000000AD7C: D100002E 018A5DC5
	v_add_u32_e32 v187, 3, v186                                // 00000000AD84: 69777483
	v_cmp_lt_u32_e64 s[98:99], v187, v195                      // 00000000AD88: D0C90062 000387BB
	s_nop 0                                                    // 00000000AD90: BF800000
	v_cndmask_b32_e64 v47, v197, v47, s[98:99]                 // 00000000AD94: D100002F 018A5FC5
	v_add_u32_e32 v187, 64, v186                               // 00000000AD9C: 697774C0
	v_cmp_lt_u32_e64 s[98:99], v187, v195                      // 00000000ADA0: D0C90062 000387BB
	s_nop 0                                                    // 00000000ADA8: BF800000
	v_cndmask_b32_e64 v48, v197, v48, s[98:99]                 // 00000000ADAC: D1000030 018A61C5
	v_add_u32_e32 v187, 0x41, v186                             // 00000000ADB4: 697774FF 00000041
	v_cmp_lt_u32_e64 s[98:99], v187, v195                      // 00000000ADBC: D0C90062 000387BB
	s_nop 0                                                    // 00000000ADC4: BF800000
	v_cndmask_b32_e64 v49, v197, v49, s[98:99]                 // 00000000ADC8: D1000031 018A63C5
	v_add_u32_e32 v187, 0x42, v186                             // 00000000ADD0: 697774FF 00000042
	v_cmp_lt_u32_e64 s[98:99], v187, v195                      // 00000000ADD8: D0C90062 000387BB
	s_nop 0                                                    // 00000000ADE0: BF800000
	v_cndmask_b32_e64 v50, v197, v50, s[98:99]                 // 00000000ADE4: D1000032 018A65C5
	v_add_u32_e32 v187, 0x43, v186                             // 00000000ADEC: 697774FF 00000043
	v_cmp_lt_u32_e64 s[98:99], v187, v195                      // 00000000ADF4: D0C90062 000387BB
	s_nop 0                                                    // 00000000ADFC: BF800000
	v_cndmask_b32_e64 v51, v197, v51, s[98:99]                 // 00000000AE00: D1000033 018A67C5
	v_add_u32_e32 v187, 0x80, v186                             // 00000000AE08: 697774FF 00000080
	v_cmp_lt_u32_e64 s[98:99], v187, v195                      // 00000000AE10: D0C90062 000387BB
	s_nop 0                                                    // 00000000AE18: BF800000
	v_cndmask_b32_e64 v52, v197, v52, s[98:99]                 // 00000000AE1C: D1000034 018A69C5
	v_add_u32_e32 v187, 0x81, v186                             // 00000000AE24: 697774FF 00000081
	v_cmp_lt_u32_e64 s[98:99], v187, v195                      // 00000000AE2C: D0C90062 000387BB
	s_nop 0                                                    // 00000000AE34: BF800000
	v_cndmask_b32_e64 v53, v197, v53, s[98:99]                 // 00000000AE38: D1000035 018A6BC5
	v_add_u32_e32 v187, 0x82, v186                             // 00000000AE40: 697774FF 00000082
	v_cmp_lt_u32_e64 s[98:99], v187, v195                      // 00000000AE48: D0C90062 000387BB
	s_nop 0                                                    // 00000000AE50: BF800000
	v_cndmask_b32_e64 v54, v197, v54, s[98:99]                 // 00000000AE54: D1000036 018A6DC5
	v_add_u32_e32 v187, 0x83, v186                             // 00000000AE5C: 697774FF 00000083
	v_cmp_lt_u32_e64 s[98:99], v187, v195                      // 00000000AE64: D0C90062 000387BB
	s_nop 0                                                    // 00000000AE6C: BF800000
	v_cndmask_b32_e64 v55, v197, v55, s[98:99]                 // 00000000AE70: D1000037 018A6FC5
	v_add_u32_e32 v187, 0xc0, v186                             // 00000000AE78: 697774FF 000000C0
	v_cmp_lt_u32_e64 s[98:99], v187, v195                      // 00000000AE80: D0C90062 000387BB
	s_nop 0                                                    // 00000000AE88: BF800000
	v_cndmask_b32_e64 v56, v197, v56, s[98:99]                 // 00000000AE8C: D1000038 018A71C5
	v_add_u32_e32 v187, 0xc1, v186                             // 00000000AE94: 697774FF 000000C1
	v_cmp_lt_u32_e64 s[98:99], v187, v195                      // 00000000AE9C: D0C90062 000387BB
	s_nop 0                                                    // 00000000AEA4: BF800000
	v_cndmask_b32_e64 v57, v197, v57, s[98:99]                 // 00000000AEA8: D1000039 018A73C5
	v_add_u32_e32 v187, 0xc2, v186                             // 00000000AEB0: 697774FF 000000C2
	v_cmp_lt_u32_e64 s[98:99], v187, v195                      // 00000000AEB8: D0C90062 000387BB
	s_nop 0                                                    // 00000000AEC0: BF800000
	v_cndmask_b32_e64 v58, v197, v58, s[98:99]                 // 00000000AEC4: D100003A 018A75C5
	v_add_u32_e32 v187, 0xc3, v186                             // 00000000AECC: 697774FF 000000C3
	v_cmp_lt_u32_e64 s[98:99], v187, v195                      // 00000000AED4: D0C90062 000387BB
	s_nop 0                                                    // 00000000AEDC: BF800000
	v_cndmask_b32_e64 v59, v197, v59, s[98:99]                 // 00000000AEE0: D100003B 018A77C5
	v_mov_b32_e32 v150, v28                                    // 00000000AEE8: 7F2C031C
	v_max3_f32 v150, v28, v29, v150                            // 00000000AEEC: D1D30096 065A3B1C
	v_max3_f32 v150, v30, v31, v150                            // 00000000AEF4: D1D30096 065A3F1E
	v_max3_f32 v150, v32, v33, v150                            // 00000000AEFC: D1D30096 065A4320
	v_max3_f32 v150, v34, v35, v150                            // 00000000AF04: D1D30096 065A4722
	v_max3_f32 v150, v36, v37, v150                            // 00000000AF0C: D1D30096 065A4B24
	v_max3_f32 v150, v38, v39, v150                            // 00000000AF14: D1D30096 065A4F26
	v_max3_f32 v150, v40, v41, v150                            // 00000000AF1C: D1D30096 065A5328
	v_max3_f32 v150, v42, v43, v150                            // 00000000AF24: D1D30096 065A572A
	v_mov_b32_e32 v151, v44                                    // 00000000AF2C: 7F2E032C
	v_max3_f32 v151, v44, v45, v151                            // 00000000AF30: D1D30097 065E5B2C
	v_max3_f32 v151, v46, v47, v151                            // 00000000AF38: D1D30097 065E5F2E
	v_max3_f32 v151, v48, v49, v151                            // 00000000AF40: D1D30097 065E6330
	v_max3_f32 v151, v50, v51, v151                            // 00000000AF48: D1D30097 065E6732
	v_max3_f32 v151, v52, v53, v151                            // 00000000AF50: D1D30097 065E6B34
	v_max3_f32 v151, v54, v55, v151                            // 00000000AF58: D1D30097 065E6F36
	v_max3_f32 v151, v56, v57, v151                            // 00000000AF60: D1D30097 065E7338
	v_max3_f32 v151, v58, v59, v151                            // 00000000AF68: D1D30097 065E773A
	ds_write_b64 v220, v[150:151]                              // 00000000AF70: D89A0000 000096DC
	v_pk_mul_f32 v[108:109], v[142:143], v[108:109]            // 00000000AF78: D3B1406C 1802D98E
	v_pk_mul_f32 v[110:111], v[142:143], v[110:111]            // 00000000AF80: D3B1406E 1802DD8E
	v_pk_mul_f32 v[112:113], v[142:143], v[112:113]            // 00000000AF88: D3B14070 1802E18E
	v_pk_mul_f32 v[114:115], v[142:143], v[114:115]            // 00000000AF90: D3B14072 1802E58E
	v_pk_mul_f32 v[116:117], v[144:145], v[116:117]            // 00000000AF98: D3B14074 1802E990
	v_pk_mul_f32 v[118:119], v[144:145], v[118:119]            // 00000000AFA0: D3B14076 1802ED90
	v_pk_mul_f32 v[120:121], v[144:145], v[120:121]            // 00000000AFA8: D3B14078 1802F190
	v_pk_mul_f32 v[122:123], v[144:145], v[122:123]            // 00000000AFB0: D3B1407A 1802F590
	s_waitcnt lgkmcnt(0)                                       // 00000000AFB8: BF8CC07F
	s_barrier                                                  // 00000000AFBC: BF8A0000
	ds_read_b64 v[154:155], v221                               // 00000000AFC0: D8EC0000 9A0000DD
	ds_read_b64 v[156:157], v221 offset:128                    // 00000000AFC8: D8EC0080 9C0000DD
	ds_read_b64 v[158:159], v221 offset:256                    // 00000000AFD0: D8EC0100 9E0000DD
	ds_read_b64 v[160:161], v221 offset:384                    // 00000000AFD8: D8EC0180 A00000DD
	ds_read_b64 v[162:163], v221 offset:512                    // 00000000AFE0: D8EC0200 A20000DD
	ds_read_b64 v[164:165], v221 offset:640                    // 00000000AFE8: D8EC0280 A40000DD
	ds_read_b64 v[166:167], v221 offset:768                    // 00000000AFF0: D8EC0300 A60000DD
	ds_read_b64 v[168:169], v221 offset:896                    // 00000000AFF8: D8EC0380 A80000DD
	ds_read_b64 v[170:171], v221 offset:1024                   // 00000000B000: D8EC0400 AA0000DD
	ds_read_b64 v[172:173], v221 offset:1152                   // 00000000B008: D8EC0480 AC0000DD
	ds_read_b64 v[174:175], v221 offset:1280                   // 00000000B010: D8EC0500 AE0000DD
	ds_read_b64 v[176:177], v221 offset:1408                   // 00000000B018: D8EC0580 B00000DD
	ds_read_b64 v[178:179], v221 offset:1536                   // 00000000B020: D8EC0600 B20000DD
	ds_read_b64 v[180:181], v221 offset:1664                   // 00000000B028: D8EC0680 B40000DD
	ds_read_b64 v[182:183], v221 offset:1792                   // 00000000B030: D8EC0700 B60000DD
	ds_read_b64 v[184:185], v221 offset:1920                   // 00000000B038: D8EC0780 B80000DD
	v_pk_mul_f32 v[92:93], v[132:133], v[92:93]                // 00000000B040: D3B1405C 1802B984
	v_pk_mul_f32 v[94:95], v[132:133], v[94:95]                // 00000000B048: D3B1405E 1802BD84
	v_pk_mul_f32 v[96:97], v[132:133], v[96:97]                // 00000000B050: D3B14060 1802C184
	v_pk_mul_f32 v[98:99], v[132:133], v[98:99]                // 00000000B058: D3B14062 1802C584
	v_pk_mul_f32 v[100:101], v[134:135], v[100:101]            // 00000000B060: D3B14064 1802C986
	v_pk_mul_f32 v[102:103], v[134:135], v[102:103]            // 00000000B068: D3B14066 1802CD86
	v_pk_mul_f32 v[104:105], v[134:135], v[104:105]            // 00000000B070: D3B14068 1802D186
	v_pk_mul_f32 v[106:107], v[134:135], v[106:107]            // 00000000B078: D3B1406A 1802D586
	s_waitcnt lgkmcnt(0)                                       // 00000000B080: BF8CC07F
	v_max3_f32 v150, v154, v156, v150                          // 00000000B084: D1D30096 065B399A
	v_max3_f32 v151, v155, v157, v151                          // 00000000B08C: D1D30097 065F3B9B
	v_max3_f32 v150, v158, v160, v150                          // 00000000B094: D1D30096 065B419E
	v_max3_f32 v151, v159, v161, v151                          // 00000000B09C: D1D30097 065F439F
	v_max3_f32 v150, v162, v164, v150                          // 00000000B0A4: D1D30096 065B49A2
	v_max3_f32 v151, v163, v165, v151                          // 00000000B0AC: D1D30097 065F4BA3
	v_max3_f32 v150, v166, v168, v150                          // 00000000B0B4: D1D30096 065B51A6
	v_max3_f32 v151, v167, v169, v151                          // 00000000B0BC: D1D30097 065F53A7
	v_max3_f32 v150, v170, v172, v150                          // 00000000B0C4: D1D30096 065B59AA
	v_max3_f32 v151, v171, v173, v151                          // 00000000B0CC: D1D30097 065F5BAB
	v_max3_f32 v150, v174, v176, v150                          // 00000000B0D4: D1D30096 065B61AE
	v_max3_f32 v151, v175, v177, v151                          // 00000000B0DC: D1D30097 065F63AF
	v_max3_f32 v150, v178, v180, v150                          // 00000000B0E4: D1D30096 065B69B2
	v_max3_f32 v151, v179, v181, v151                          // 00000000B0EC: D1D30097 065F6BB3
	v_max3_f32 v150, v182, v184, v150                          // 00000000B0F4: D1D30096 065B71B6
	v_max3_f32 v151, v183, v185, v151                          // 00000000B0FC: D1D30097 065F73B7
	v_max_f32_e32 v140, v150, v138                             // 00000000B104: 17191596
	v_mul_f32_e64 v186, -s46, v140                             // 00000000B108: D10500BA 2003182E
	v_mov_b32_e32 v187, v186                                   // 00000000B110: 7F7603BA
	v_pk_fma_f32 v[28:29], v[28:29], s[46:47], v[186:187]      // 00000000B114: D3B0401C 1EE85D1C
	v_pk_fma_f32 v[30:31], v[30:31], s[46:47], v[186:187]      // 00000000B11C: D3B0401E 1EE85D1E
	v_exp_f32_e32 v28, v28                                     // 00000000B124: 7E38411C
	v_exp_f32_e32 v29, v29                                     // 00000000B128: 7E3A411D
	v_exp_f32_e32 v30, v30                                     // 00000000B12C: 7E3C411E
	v_exp_f32_e32 v31, v31                                     // 00000000B130: 7E3E411F
	v_pk_fma_f32 v[32:33], v[32:33], s[46:47], v[186:187]      // 00000000B134: D3B04020 1EE85D20
	v_pk_fma_f32 v[34:35], v[34:35], s[46:47], v[186:187]      // 00000000B13C: D3B04022 1EE85D22
	v_exp_f32_e32 v32, v32                                     // 00000000B144: 7E404120
	v_exp_f32_e32 v33, v33                                     // 00000000B148: 7E424121
	v_exp_f32_e32 v34, v34                                     // 00000000B14C: 7E444122
	v_exp_f32_e32 v35, v35                                     // 00000000B150: 7E464123
	v_pk_fma_f32 v[36:37], v[36:37], s[46:47], v[186:187]      // 00000000B154: D3B04024 1EE85D24
	v_pk_fma_f32 v[38:39], v[38:39], s[46:47], v[186:187]      // 00000000B15C: D3B04026 1EE85D26
	v_exp_f32_e32 v36, v36                                     // 00000000B164: 7E484124
	v_exp_f32_e32 v37, v37                                     // 00000000B168: 7E4A4125
	v_exp_f32_e32 v38, v38                                     // 00000000B16C: 7E4C4126
	v_exp_f32_e32 v39, v39                                     // 00000000B170: 7E4E4127
	v_pk_fma_f32 v[40:41], v[40:41], s[46:47], v[186:187]      // 00000000B174: D3B04028 1EE85D28
	v_pk_fma_f32 v[42:43], v[42:43], s[46:47], v[186:187]      // 00000000B17C: D3B0402A 1EE85D2A
	v_exp_f32_e32 v40, v40                                     // 00000000B184: 7E504128
	v_exp_f32_e32 v41, v41                                     // 00000000B188: 7E524129
	v_exp_f32_e32 v42, v42                                     // 00000000B18C: 7E54412A
	v_exp_f32_e32 v43, v43                                     // 00000000B190: 7E56412B
	v_max_f32_e32 v141, v151, v139                             // 00000000B194: 171B1797
	v_mul_f32_e64 v186, -s46, v141                             // 00000000B198: D10500BA 20031A2E
	v_mov_b32_e32 v187, v186                                   // 00000000B1A0: 7F7603BA
	v_pk_fma_f32 v[44:45], v[44:45], s[46:47], v[186:187]      // 00000000B1A4: D3B0402C 1EE85D2C
	v_pk_fma_f32 v[46:47], v[46:47], s[46:47], v[186:187]      // 00000000B1AC: D3B0402E 1EE85D2E
	v_exp_f32_e32 v44, v44                                     // 00000000B1B4: 7E58412C
	v_exp_f32_e32 v45, v45                                     // 00000000B1B8: 7E5A412D
	v_exp_f32_e32 v46, v46                                     // 00000000B1BC: 7E5C412E
	v_exp_f32_e32 v47, v47                                     // 00000000B1C0: 7E5E412F
	v_pk_fma_f32 v[48:49], v[48:49], s[46:47], v[186:187]      // 00000000B1C4: D3B04030 1EE85D30
	v_pk_fma_f32 v[50:51], v[50:51], s[46:47], v[186:187]      // 00000000B1CC: D3B04032 1EE85D32
	v_exp_f32_e32 v48, v48                                     // 00000000B1D4: 7E604130
	v_exp_f32_e32 v49, v49                                     // 00000000B1D8: 7E624131
	v_exp_f32_e32 v50, v50                                     // 00000000B1DC: 7E644132
	v_exp_f32_e32 v51, v51                                     // 00000000B1E0: 7E664133
	v_pk_fma_f32 v[52:53], v[52:53], s[46:47], v[186:187]      // 00000000B1E4: D3B04034 1EE85D34
	v_pk_fma_f32 v[54:55], v[54:55], s[46:47], v[186:187]      // 00000000B1EC: D3B04036 1EE85D36
	v_exp_f32_e32 v52, v52                                     // 00000000B1F4: 7E684134
	v_exp_f32_e32 v53, v53                                     // 00000000B1F8: 7E6A4135
	v_exp_f32_e32 v54, v54                                     // 00000000B1FC: 7E6C4136
	v_exp_f32_e32 v55, v55                                     // 00000000B200: 7E6E4137
	v_pk_fma_f32 v[56:57], v[56:57], s[46:47], v[186:187]      // 00000000B204: D3B04038 1EE85D38
	v_pk_fma_f32 v[58:59], v[58:59], s[46:47], v[186:187]      // 00000000B20C: D3B0403A 1EE85D3A
	v_exp_f32_e32 v56, v56                                     // 00000000B214: 7E704138
	v_exp_f32_e32 v57, v57                                     // 00000000B218: 7E724139
	v_exp_f32_e32 v58, v58                                     // 00000000B21C: 7E74413A
	v_exp_f32_e32 v59, v59                                     // 00000000B220: 7E76413B
	v_mul_f32_dpp v60, v131, v28 row_newbcast:0 row_mask:0xf bank_mask:0xf// 00000000B224: 0A7838FA FF015083
	v_mul_f32_dpp v61, v131, v29 row_newbcast:1 row_mask:0xf bank_mask:0xf// 00000000B22C: 0A7A3AFA FF015183
	v_mul_f32_dpp v62, v131, v30 row_newbcast:2 row_mask:0xf bank_mask:0xf// 00000000B234: 0A7C3CFA FF015283
	v_mul_f32_dpp v63, v131, v31 row_newbcast:3 row_mask:0xf bank_mask:0xf// 00000000B23C: 0A7E3EFA FF015383
	v_mul_f32_dpp v64, v131, v32 row_newbcast:4 row_mask:0xf bank_mask:0xf// 00000000B244: 0A8040FA FF015483
	v_mul_f32_dpp v65, v131, v33 row_newbcast:5 row_mask:0xf bank_mask:0xf// 00000000B24C: 0A8242FA FF015583
	v_mul_f32_dpp v66, v131, v34 row_newbcast:6 row_mask:0xf bank_mask:0xf// 00000000B254: 0A8444FA FF015683
	v_mul_f32_dpp v67, v131, v35 row_newbcast:7 row_mask:0xf bank_mask:0xf// 00000000B25C: 0A8646FA FF015783
	v_mul_f32_dpp v68, v131, v36 row_newbcast:8 row_mask:0xf bank_mask:0xf// 00000000B264: 0A8848FA FF015883
	v_mul_f32_dpp v69, v131, v37 row_newbcast:9 row_mask:0xf bank_mask:0xf// 00000000B26C: 0A8A4AFA FF015983
	v_mul_f32_dpp v70, v131, v38 row_newbcast:10 row_mask:0xf bank_mask:0xf// 00000000B274: 0A8C4CFA FF015A83
	v_mul_f32_dpp v71, v131, v39 row_newbcast:11 row_mask:0xf bank_mask:0xf// 00000000B27C: 0A8E4EFA FF015B83
	v_mul_f32_dpp v72, v131, v40 row_newbcast:12 row_mask:0xf bank_mask:0xf// 00000000B284: 0A9050FA FF015C83
	v_mul_f32_dpp v73, v131, v41 row_newbcast:13 row_mask:0xf bank_mask:0xf// 00000000B28C: 0A9252FA FF015D83
	v_mul_f32_dpp v74, v131, v42 row_newbcast:14 row_mask:0xf bank_mask:0xf// 00000000B294: 0A9454FA FF015E83
	v_mul_f32_dpp v75, v131, v43 row_newbcast:15 row_mask:0xf bank_mask:0xf// 00000000B29C: 0A9656FA FF015F83
	v_mul_f32_dpp v76, v131, v44 row_newbcast:0 row_mask:0xf bank_mask:0xf// 00000000B2A4: 0A9858FA FF015083
	v_mul_f32_dpp v77, v131, v45 row_newbcast:1 row_mask:0xf bank_mask:0xf// 00000000B2AC: 0A9A5AFA FF015183
	v_mul_f32_dpp v78, v131, v46 row_newbcast:2 row_mask:0xf bank_mask:0xf// 00000000B2B4: 0A9C5CFA FF015283
	v_mul_f32_dpp v79, v131, v47 row_newbcast:3 row_mask:0xf bank_mask:0xf// 00000000B2BC: 0A9E5EFA FF015383
	v_mul_f32_dpp v80, v131, v48 row_newbcast:4 row_mask:0xf bank_mask:0xf// 00000000B2C4: 0AA060FA FF015483
	v_mul_f32_dpp v81, v131, v49 row_newbcast:5 row_mask:0xf bank_mask:0xf// 00000000B2CC: 0AA262FA FF015583
	v_mul_f32_dpp v82, v131, v50 row_newbcast:6 row_mask:0xf bank_mask:0xf// 00000000B2D4: 0AA464FA FF015683
	v_mul_f32_dpp v83, v131, v51 row_newbcast:7 row_mask:0xf bank_mask:0xf// 00000000B2DC: 0AA666FA FF015783
	v_mul_f32_dpp v84, v131, v52 row_newbcast:8 row_mask:0xf bank_mask:0xf// 00000000B2E4: 0AA868FA FF015883
	v_mul_f32_dpp v85, v131, v53 row_newbcast:9 row_mask:0xf bank_mask:0xf// 00000000B2EC: 0AAA6AFA FF015983
	v_mul_f32_dpp v86, v131, v54 row_newbcast:10 row_mask:0xf bank_mask:0xf// 00000000B2F4: 0AAC6CFA FF015A83
	v_mul_f32_dpp v87, v131, v55 row_newbcast:11 row_mask:0xf bank_mask:0xf// 00000000B2FC: 0AAE6EFA FF015B83
	v_mul_f32_dpp v88, v131, v56 row_newbcast:12 row_mask:0xf bank_mask:0xf// 00000000B304: 0AB070FA FF015C83
	v_mul_f32_dpp v89, v131, v57 row_newbcast:13 row_mask:0xf bank_mask:0xf// 00000000B30C: 0AB272FA FF015D83
	v_mul_f32_dpp v90, v131, v58 row_newbcast:14 row_mask:0xf bank_mask:0xf// 00000000B314: 0AB474FA FF015E83
	v_mul_f32_dpp v91, v131, v59 row_newbcast:15 row_mask:0xf bank_mask:0xf// 00000000B31C: 0AB676FA FF015F83
	v_add_u32_e32 v186, s64, v196                              // 00000000B324: 69758840
	v_add_u32_e32 v187, 0, v186                                // 00000000B328: 69777480
	v_cmp_lt_u32_e32 vcc, v187, v194                           // 00000000B32C: 7D9385BB
	v_cndmask_b32_e32 v60, 0, v60, vcc                         // 00000000B330: 00787880
	v_cmp_lt_u32_e32 vcc, v187, v195                           // 00000000B334: 7D9387BB
	v_cndmask_b32_e32 v76, 0, v76, vcc                         // 00000000B338: 00989880
	v_add_u32_e32 v187, 1, v186                                // 00000000B33C: 69777481
	v_cmp_lt_u32_e32 vcc, v187, v194                           // 00000000B340: 7D9385BB
	v_cndmask_b32_e32 v61, 0, v61, vcc                         // 00000000B344: 007A7A80
	v_cmp_lt_u32_e32 vcc, v187, v195                           // 00000000B348: 7D9387BB
	v_cndmask_b32_e32 v77, 0, v77, vcc                         // 00000000B34C: 009A9A80
	v_add_u32_e32 v187, 2, v186                                // 00000000B350: 69777482
	v_cmp_lt_u32_e32 vcc, v187, v194                           // 00000000B354: 7D9385BB
	v_cndmask_b32_e32 v62, 0, v62, vcc                         // 00000000B358: 007C7C80
	v_cmp_lt_u32_e32 vcc, v187, v195                           // 00000000B35C: 7D9387BB
	v_cndmask_b32_e32 v78, 0, v78, vcc                         // 00000000B360: 009C9C80
	v_add_u32_e32 v187, 3, v186                                // 00000000B364: 69777483
	v_cmp_lt_u32_e32 vcc, v187, v194                           // 00000000B368: 7D9385BB
	v_cndmask_b32_e32 v63, 0, v63, vcc                         // 00000000B36C: 007E7E80
	v_cmp_lt_u32_e32 vcc, v187, v195                           // 00000000B370: 7D9387BB
	v_cndmask_b32_e32 v79, 0, v79, vcc                         // 00000000B374: 009E9E80
	v_add_u32_e32 v187, 64, v186                               // 00000000B378: 697774C0
	v_cmp_lt_u32_e32 vcc, v187, v194                           // 00000000B37C: 7D9385BB
	v_cndmask_b32_e32 v64, 0, v64, vcc                         // 00000000B380: 00808080
	v_cmp_lt_u32_e32 vcc, v187, v195                           // 00000000B384: 7D9387BB
	v_cndmask_b32_e32 v80, 0, v80, vcc                         // 00000000B388: 00A0A080
	v_add_u32_e32 v187, 0x41, v186                             // 00000000B38C: 697774FF 00000041
	v_cmp_lt_u32_e32 vcc, v187, v194                           // 00000000B394: 7D9385BB
	v_cndmask_b32_e32 v65, 0, v65, vcc                         // 00000000B398: 00828280
	v_cmp_lt_u32_e32 vcc, v187, v195                           // 00000000B39C: 7D9387BB
	v_cndmask_b32_e32 v81, 0, v81, vcc                         // 00000000B3A0: 00A2A280
	v_add_u32_e32 v187, 0x42, v186                             // 00000000B3A4: 697774FF 00000042
	v_cmp_lt_u32_e32 vcc, v187, v194                           // 00000000B3AC: 7D9385BB
	v_cndmask_b32_e32 v66, 0, v66, vcc                         // 00000000B3B0: 00848480
	v_cmp_lt_u32_e32 vcc, v187, v195                           // 00000000B3B4: 7D9387BB
	v_cndmask_b32_e32 v82, 0, v82, vcc                         // 00000000B3B8: 00A4A480
	v_add_u32_e32 v187, 0x43, v186                             // 00000000B3BC: 697774FF 00000043
	v_cmp_lt_u32_e32 vcc, v187, v194                           // 00000000B3C4: 7D9385BB
	v_cndmask_b32_e32 v67, 0, v67, vcc                         // 00000000B3C8: 00868680
	v_cmp_lt_u32_e32 vcc, v187, v195                           // 00000000B3CC: 7D9387BB
	v_cndmask_b32_e32 v83, 0, v83, vcc                         // 00000000B3D0: 00A6A680
	v_add_u32_e32 v187, 0x80, v186                             // 00000000B3D4: 697774FF 00000080
	v_cmp_lt_u32_e32 vcc, v187, v194                           // 00000000B3DC: 7D9385BB
	v_cndmask_b32_e32 v68, 0, v68, vcc                         // 00000000B3E0: 00888880
	v_cmp_lt_u32_e32 vcc, v187, v195                           // 00000000B3E4: 7D9387BB
	v_cndmask_b32_e32 v84, 0, v84, vcc                         // 00000000B3E8: 00A8A880
	v_add_u32_e32 v187, 0x81, v186                             // 00000000B3EC: 697774FF 00000081
	v_cmp_lt_u32_e32 vcc, v187, v194                           // 00000000B3F4: 7D9385BB
	v_cndmask_b32_e32 v69, 0, v69, vcc                         // 00000000B3F8: 008A8A80
	v_cmp_lt_u32_e32 vcc, v187, v195                           // 00000000B3FC: 7D9387BB
	v_cndmask_b32_e32 v85, 0, v85, vcc                         // 00000000B400: 00AAAA80
	v_add_u32_e32 v187, 0x82, v186                             // 00000000B404: 697774FF 00000082
	v_cmp_lt_u32_e32 vcc, v187, v194                           // 00000000B40C: 7D9385BB
	v_cndmask_b32_e32 v70, 0, v70, vcc                         // 00000000B410: 008C8C80
	v_cmp_lt_u32_e32 vcc, v187, v195                           // 00000000B414: 7D9387BB
	v_cndmask_b32_e32 v86, 0, v86, vcc                         // 00000000B418: 00ACAC80
	v_add_u32_e32 v187, 0x83, v186                             // 00000000B41C: 697774FF 00000083
	v_cmp_lt_u32_e32 vcc, v187, v194                           // 00000000B424: 7D9385BB
	v_cndmask_b32_e32 v71, 0, v71, vcc                         // 00000000B428: 008E8E80
	v_cmp_lt_u32_e32 vcc, v187, v195                           // 00000000B42C: 7D9387BB
	v_cndmask_b32_e32 v87, 0, v87, vcc                         // 00000000B430: 00AEAE80
	v_add_u32_e32 v187, 0xc0, v186                             // 00000000B434: 697774FF 000000C0
	v_cmp_lt_u32_e32 vcc, v187, v194                           // 00000000B43C: 7D9385BB
	v_cndmask_b32_e32 v72, 0, v72, vcc                         // 00000000B440: 00909080
	v_cmp_lt_u32_e32 vcc, v187, v195                           // 00000000B444: 7D9387BB
	v_cndmask_b32_e32 v88, 0, v88, vcc                         // 00000000B448: 00B0B080
	v_add_u32_e32 v187, 0xc1, v186                             // 00000000B44C: 697774FF 000000C1
	v_cmp_lt_u32_e32 vcc, v187, v194                           // 00000000B454: 7D9385BB
	v_cndmask_b32_e32 v73, 0, v73, vcc                         // 00000000B458: 00929280
	v_cmp_lt_u32_e32 vcc, v187, v195                           // 00000000B45C: 7D9387BB
	v_cndmask_b32_e32 v89, 0, v89, vcc                         // 00000000B460: 00B2B280
	v_add_u32_e32 v187, 0xc2, v186                             // 00000000B464: 697774FF 000000C2
	v_cmp_lt_u32_e32 vcc, v187, v194                           // 00000000B46C: 7D9385BB
	v_cndmask_b32_e32 v74, 0, v74, vcc                         // 00000000B470: 00949480
	v_cmp_lt_u32_e32 vcc, v187, v195                           // 00000000B474: 7D9387BB
	v_cndmask_b32_e32 v90, 0, v90, vcc                         // 00000000B478: 00B4B480
	v_add_u32_e32 v187, 0xc3, v186                             // 00000000B47C: 697774FF 000000C3
	v_cmp_lt_u32_e32 vcc, v187, v194                           // 00000000B484: 7D9385BB
	v_cndmask_b32_e32 v75, 0, v75, vcc                         // 00000000B488: 00969680
	v_cmp_lt_u32_e32 vcc, v187, v195                           // 00000000B48C: 7D9387BB
	v_cndmask_b32_e32 v91, 0, v91, vcc                         // 00000000B490: 00B6B680
	buffer_load_dword v128, v208, s[20:23], 0 offen            // 00000000B494: E0501000 800580D0
	v_sub_f32_e32 v142, v138, v140                             // 00000000B49C: 051D198A
	v_cmp_eq_u32_e64 s[98:99], v197, v138                      // 00000000B4A0: D0CA0062 000315C5
	v_cndmask_b32_e64 v142, v142, 0, s[98:99]                  // 00000000B4A8: D100008E 0189018E
	v_mov_b32_e32 v138, v140                                   // 00000000B4B0: 7F14038C
	v_mul_f32_e32 v142, s46, v142                              // 00000000B4B4: 0B1D1C2E
	v_exp_f32_e32 v142, v142                                   // 00000000B4B8: 7F1C418E
	v_sub_f32_e32 v144, v139, v141                             // 00000000B4BC: 05211B8B
	v_cmp_eq_u32_e64 s[98:99], v197, v139                      // 00000000B4C0: D0CA0062 000317C5
	v_cndmask_b32_e64 v144, v144, 0, s[98:99]                  // 00000000B4C8: D1000090 01890190
	v_mov_b32_e32 v139, v141                                   // 00000000B4D0: 7F16038D
	v_mul_f32_e32 v144, s46, v144                              // 00000000B4D4: 0B21202E
	v_exp_f32_e32 v144, v144                                   // 00000000B4D8: 7F204190
	v_mov_b32_e32 v143, v142                                   // 00000000B4DC: 7F1E038E
	v_mov_b32_e32 v145, v144                                   // 00000000B4E0: 7F220390
	buffer_load_dword v130, v209, s[24:27], 0 offen            // 00000000B4E4: E0501000 800682D1
	s_waitcnt lgkmcnt(0)                                       // 00000000B4EC: BF8CC07F
	s_barrier                                                  // 00000000B4F0: BF8A0000
	v_mul_f32_e32 v146, v142, v146                             // 00000000B4F4: 0B25258E
	v_mov_b32_e32 v147, 0                                      // 00000000B4F8: 7F260280
	v_pk_add_f32 v[146:147], v[28:29], v[146:147]              // 00000000B4FC: D3B24092 1803251C
	v_pk_add_f32 v[146:147], v[30:31], v[146:147]              // 00000000B504: D3B24092 1803251E
	v_pk_add_f32 v[146:147], v[32:33], v[146:147]              // 00000000B50C: D3B24092 18032520
	v_pk_add_f32 v[146:147], v[34:35], v[146:147]              // 00000000B514: D3B24092 18032522
	v_pk_add_f32 v[146:147], v[36:37], v[146:147]              // 00000000B51C: D3B24092 18032524
	v_pk_add_f32 v[146:147], v[38:39], v[146:147]              // 00000000B524: D3B24092 18032526
	v_pk_add_f32 v[146:147], v[40:41], v[146:147]              // 00000000B52C: D3B24092 18032528
	v_pk_add_f32 v[146:147], v[42:43], v[146:147]              // 00000000B534: D3B24092 1803252A
	v_add_f32_e32 v146, v147, v146                             // 00000000B53C: 03252593
	v_mul_f32_e32 v148, v144, v148                             // 00000000B540: 0B292990
	v_mov_b32_e32 v149, 0                                      // 00000000B544: 7F2A0280
	v_pk_add_f32 v[148:149], v[44:45], v[148:149]              // 00000000B548: D3B24094 1803292C
	v_pk_add_f32 v[148:149], v[46:47], v[148:149]              // 00000000B550: D3B24094 1803292E
	v_pk_add_f32 v[148:149], v[48:49], v[148:149]              // 00000000B558: D3B24094 18032930
	v_pk_add_f32 v[148:149], v[50:51], v[148:149]              // 00000000B560: D3B24094 18032932
	v_pk_add_f32 v[148:149], v[52:53], v[148:149]              // 00000000B568: D3B24094 18032934
	v_pk_add_f32 v[148:149], v[54:55], v[148:149]              // 00000000B570: D3B24094 18032936
	v_pk_add_f32 v[148:149], v[56:57], v[148:149]              // 00000000B578: D3B24094 18032938
	v_pk_add_f32 v[148:149], v[58:59], v[148:149]              // 00000000B580: D3B24094 1803293A
	v_add_f32_e32 v148, v149, v148                             // 00000000B588: 03292995
	s_waitcnt lgkmcnt(0)                                       // 00000000B58C: BF8CC07F
	v_sub_f32_e32 v150, v150, v138                             // 00000000B590: 052D1596
	v_sub_f32_e32 v151, v151, v139                             // 00000000B594: 052F1797
	v_mul_f32_e32 v150, s46, v150                              // 00000000B598: 0B2D2C2E
	v_mul_f32_e32 v151, s46, v151                              // 00000000B59C: 0B2F2E2E
	v_exp_f32_e32 v150, v150                                   // 00000000B5A0: 7F2C4196
	v_exp_f32_e32 v151, v151                                   // 00000000B5A4: 7F2E4197
	v_mul_f32_e32 v150, v131, v150                             // 00000000B5A8: 0B2D2D83
	v_mul_f32_e32 v151, v131, v151                             // 00000000B5AC: 0B2F2F83
	v_add_f32_e32 v150, 0x3089705f, v150                       // 00000000B5B0: 032D2CFF 3089705F
	v_add_f32_e32 v151, 0x3089705f, v151                       // 00000000B5B8: 032F2EFF 3089705F
	v_rcp_f32_e32 v150, v150                                   // 00000000B5C0: 7F2C4596
	v_rcp_f32_e32 v151, v151                                   // 00000000B5C4: 7F2E4597
	v_mul_f32_e32 v150, 0x43700000, v150                       // 00000000B5C8: 0B2D2CFF 43700000
	v_mul_f32_e32 v151, 0x43700000, v151                       // 00000000B5D0: 0B2F2EFF 43700000
	v_mov_b32_e32 v152, v151                                   // 00000000B5D8: 7F300397
	v_mov_b32_e32 v153, v151                                   // 00000000B5DC: 7F320397
	v_mov_b32_e32 v151, v150                                   // 00000000B5E0: 7F2E0396
	v_pk_mul_f32 v[28:29], v[150:151], v[60:61]                // 00000000B5E4: D3B1401C 18027996
	v_pk_mul_f32 v[30:31], v[150:151], v[62:63]                // 00000000B5EC: D3B1401E 18027D96
	v_pk_mul_f32 v[32:33], v[150:151], v[64:65]                // 00000000B5F4: D3B14020 18028196
	v_pk_mul_f32 v[34:35], v[150:151], v[66:67]                // 00000000B5FC: D3B14022 18028596
	v_pk_mul_f32 v[36:37], v[150:151], v[68:69]                // 00000000B604: D3B14024 18028996
	v_pk_mul_f32 v[38:39], v[150:151], v[70:71]                // 00000000B60C: D3B14026 18028D96
	v_pk_mul_f32 v[40:41], v[150:151], v[72:73]                // 00000000B614: D3B14028 18029196
	v_pk_mul_f32 v[42:43], v[150:151], v[74:75]                // 00000000B61C: D3B1402A 18029596
	v_pk_mul_f32 v[44:45], v[152:153], v[76:77]                // 00000000B624: D3B1402C 18029998
	v_pk_mul_f32 v[46:47], v[152:153], v[78:79]                // 00000000B62C: D3B1402E 18029D98
	v_pk_mul_f32 v[48:49], v[152:153], v[80:81]                // 00000000B634: D3B14030 1802A198
	v_pk_mul_f32 v[50:51], v[152:153], v[82:83]                // 00000000B63C: D3B14032 1802A598
	v_pk_mul_f32 v[52:53], v[152:153], v[84:85]                // 00000000B644: D3B14034 1802A998
	v_pk_mul_f32 v[54:55], v[152:153], v[86:87]                // 00000000B64C: D3B14036 1802AD98
	v_pk_mul_f32 v[56:57], v[152:153], v[88:89]                // 00000000B654: D3B14038 1802B198
	v_pk_mul_f32 v[58:59], v[152:153], v[90:91]                // 00000000B65C: D3B1403A 1802B598
	v_cvt_pk_fp8_f32 v28, v28, v29                             // 00000000B664: D2A2001C 00023B1C
	v_cvt_pk_fp8_f32 v28, v30, v31 op_sel:[0,0,1]              // 00000000B66C: D2A2401C 00023F1E
	v_cvt_pk_fp8_f32 v29, v32, v33                             // 00000000B674: D2A2001D 00024320
	v_cvt_pk_fp8_f32 v29, v34, v35 op_sel:[0,0,1]              // 00000000B67C: D2A2401D 00024722
	v_cvt_pk_fp8_f32 v30, v36, v37                             // 00000000B684: D2A2001E 00024B24
	v_cvt_pk_fp8_f32 v30, v38, v39 op_sel:[0,0,1]              // 00000000B68C: D2A2401E 00024F26
	v_cvt_pk_fp8_f32 v31, v40, v41                             // 00000000B694: D2A2001F 00025328
	v_cvt_pk_fp8_f32 v31, v42, v43 op_sel:[0,0,1]              // 00000000B69C: D2A2401F 0002572A
	v_cvt_pk_fp8_f32 v32, v44, v45                             // 00000000B6A4: D2A20020 00025B2C
	v_cvt_pk_fp8_f32 v32, v46, v47 op_sel:[0,0,1]              // 00000000B6AC: D2A24020 00025F2E
	v_cvt_pk_fp8_f32 v33, v48, v49                             // 00000000B6B4: D2A20021 00026330
	v_cvt_pk_fp8_f32 v33, v50, v51 op_sel:[0,0,1]              // 00000000B6BC: D2A24021 00026732
	v_cvt_pk_fp8_f32 v34, v52, v53                             // 00000000B6C4: D2A20022 00026B34
	v_cvt_pk_fp8_f32 v34, v54, v55 op_sel:[0,0,1]              // 00000000B6CC: D2A24022 00026F36
	v_cvt_pk_fp8_f32 v35, v56, v57                             // 00000000B6D4: D2A20023 00027338
	v_cvt_pk_fp8_f32 v35, v58, v59 op_sel:[0,0,1]              // 00000000B6DC: D2A24023 0002773A
	ds_write_b32 v222, v28 offset:4608                         // 00000000B6E4: D81A1200 00001CDE
	ds_write_b32 v222, v29 offset:5632                         // 00000000B6EC: D81A1600 00001DDE
	ds_write_b32 v222, v30 offset:6656                         // 00000000B6F4: D81A1A00 00001EDE
	ds_write_b32 v222, v31 offset:7680                         // 00000000B6FC: D81A1E00 00001FDE
	ds_write_b32 v222, v32 offset:8704                         // 00000000B704: D81A2200 000020DE
	ds_write_b32 v222, v33 offset:9728                         // 00000000B70C: D81A2600 000021DE
	ds_write_b32 v222, v34 offset:10752                        // 00000000B714: D81A2A00 000022DE
	ds_write_b32 v222, v35 offset:11776                        // 00000000B71C: D81A2E00 000023DE
	v_rcp_f32_e32 v132, v150                                   // 00000000B724: 7F084596
	v_rcp_f32_e32 v134, v152                                   // 00000000B728: 7F0C4598
	v_mov_b32_e32 v133, v132                                   // 00000000B72C: 7F0A0384
	v_mov_b32_e32 v135, v134                                   // 00000000B730: 7F0E0386
	v_pk_add_f32 v[108:109], v[108:109], v[92:93]              // 00000000B734: D3B2406C 1802B96C
	v_pk_add_f32 v[110:111], v[110:111], v[94:95]              // 00000000B73C: D3B2406E 1802BD6E
	v_pk_add_f32 v[112:113], v[112:113], v[96:97]              // 00000000B744: D3B24070 1802C170
	v_pk_add_f32 v[114:115], v[114:115], v[98:99]              // 00000000B74C: D3B24072 1802C572
	v_pk_add_f32 v[116:117], v[116:117], v[100:101]            // 00000000B754: D3B24074 1802C974
	v_pk_add_f32 v[118:119], v[118:119], v[102:103]            // 00000000B75C: D3B24076 1802CD76
	v_pk_add_f32 v[120:121], v[120:121], v[104:105]            // 00000000B764: D3B24078 1802D178
	v_pk_add_f32 v[122:123], v[122:123], v[106:107]            // 00000000B76C: D3B2407A 1802D57A
	s_waitcnt lgkmcnt(0)                                       // 00000000B774: BF8CC07F
	s_barrier                                                  // 00000000B778: BF8A0000
	ds_read_b128 v[28:31], v223 offset:4608                    // 00000000B77C: D9FE1200 1C0000DF
	ds_read_b128 v[32:35], v223 offset:5632                    // 00000000B784: D9FE1600 200000DF
	ds_read_b128 v[36:39], v223 offset:6656                    // 00000000B78C: D9FE1A00 240000DF
	ds_read_b128 v[40:43], v223 offset:7680                    // 00000000B794: D9FE1E00 280000DF
	ds_read_b128 v[44:47], v223 offset:8704                    // 00000000B79C: D9FE2200 2C0000DF
	ds_read_b128 v[48:51], v223 offset:9728                    // 00000000B7A4: D9FE2600 300000DF
	ds_read_b128 v[52:55], v223 offset:10752                   // 00000000B7AC: D9FE2A00 340000DF
	ds_read_b128 v[56:59], v223 offset:11776                   // 00000000B7B4: D9FE2E00 380000DF
	s_waitcnt vmcnt(10)                                        // 00000000B7BC: BF8C0F7A
	v_lshrrev_b32_e32 v136, 4, v0                              // 00000000B7C0: 21100084
	v_lshlrev_b32_e32 v136, 4, v136                            // 00000000B7C4: 25111084
	v_add_u32_e32 v186, s64, v136                              // 00000000B7C8: 69751040
	v_add_u32_e32 v186, 4, v186                                // 00000000B7CC: 69757484
	v_sub_i32 v186, v186, s62                                  // 00000000B7D0: D29D00BA 00007DBA
	s_mov_b32 s54, 0                                           // 00000000B7D8: BEB60080
	v_add_i32 v187, s54, v186                                  // 00000000B7DC: D29C00BB 00037436
	v_cmp_lt_i32_e64 vcc, v187, 4                              // 00000000B7E4: D0C1006A 000109BB
	v_min_u32_e32 v187, 4, v187                                // 00000000B7EC: 1D777684
	v_lshlrev_b32_e32 v187, 3, v187                            // 00000000B7F0: 25777683
	v_lshrrev_b32_e64 v188, v187, -1                           // 00000000B7F4: D11000BC 000183BB
	v_accvgpr_read_b32 v189, a96                               // 00000000B7FC: D3D840BD 18000160
	v_cndmask_b32_e32 v189, 0, v189, vcc                       // 00000000B804: 017B7A80
	v_and_b32_e32 v189, v189, v188                             // 00000000B808: 277B79BD
	v_accvgpr_write_b32 a96, v189                              // 00000000B80C: D3D94060 180001BD
	v_accvgpr_read_b32 v189, a112                              // 00000000B814: D3D840BD 18000170
	v_cndmask_b32_e32 v189, 0, v189, vcc                       // 00000000B81C: 017B7A80
	v_and_b32_e32 v189, v189, v188                             // 00000000B820: 277B79BD
	v_accvgpr_write_b32 a112, v189                             // 00000000B824: D3D94070 180001BD
	s_mov_b32 s54, 4                                           // 00000000B82C: BEB60084
	v_add_i32 v187, s54, v186                                  // 00000000B830: D29C00BB 00037436
	v_cmp_lt_i32_e64 vcc, v187, 4                              // 00000000B838: D0C1006A 000109BB
	v_min_u32_e32 v187, 4, v187                                // 00000000B840: 1D777684
	v_lshlrev_b32_e32 v187, 3, v187                            // 00000000B844: 25777683
	v_lshrrev_b32_e64 v188, v187, -1                           // 00000000B848: D11000BC 000183BB
	v_accvgpr_read_b32 v189, a97                               // 00000000B850: D3D840BD 18000161
	v_cndmask_b32_e32 v189, 0, v189, vcc                       // 00000000B858: 017B7A80
	v_and_b32_e32 v189, v189, v188                             // 00000000B85C: 277B79BD
	v_accvgpr_write_b32 a97, v189                              // 00000000B860: D3D94061 180001BD
	v_accvgpr_read_b32 v189, a113                              // 00000000B868: D3D840BD 18000171
	v_cndmask_b32_e32 v189, 0, v189, vcc                       // 00000000B870: 017B7A80
	v_and_b32_e32 v189, v189, v188                             // 00000000B874: 277B79BD
	v_accvgpr_write_b32 a113, v189                             // 00000000B878: D3D94071 180001BD
	s_mov_b32 s54, 8                                           // 00000000B880: BEB60088
	v_add_i32 v187, s54, v186                                  // 00000000B884: D29C00BB 00037436
	v_cmp_lt_i32_e64 vcc, v187, 4                              // 00000000B88C: D0C1006A 000109BB
	v_min_u32_e32 v187, 4, v187                                // 00000000B894: 1D777684
	v_lshlrev_b32_e32 v187, 3, v187                            // 00000000B898: 25777683
	v_lshrrev_b32_e64 v188, v187, -1                           // 00000000B89C: D11000BC 000183BB
	v_accvgpr_read_b32 v189, a98                               // 00000000B8A4: D3D840BD 18000162
	v_cndmask_b32_e32 v189, 0, v189, vcc                       // 00000000B8AC: 017B7A80
	v_and_b32_e32 v189, v189, v188                             // 00000000B8B0: 277B79BD
	v_accvgpr_write_b32 a98, v189                              // 00000000B8B4: D3D94062 180001BD
	v_accvgpr_read_b32 v189, a114                              // 00000000B8BC: D3D840BD 18000172
	v_cndmask_b32_e32 v189, 0, v189, vcc                       // 00000000B8C4: 017B7A80
	v_and_b32_e32 v189, v189, v188                             // 00000000B8C8: 277B79BD
	v_accvgpr_write_b32 a114, v189                             // 00000000B8CC: D3D94072 180001BD
	s_mov_b32 s54, 12                                          // 00000000B8D4: BEB6008C
	v_add_i32 v187, s54, v186                                  // 00000000B8D8: D29C00BB 00037436
	v_cmp_lt_i32_e64 vcc, v187, 4                              // 00000000B8E0: D0C1006A 000109BB
	v_min_u32_e32 v187, 4, v187                                // 00000000B8E8: 1D777684
	v_lshlrev_b32_e32 v187, 3, v187                            // 00000000B8EC: 25777683
	v_lshrrev_b32_e64 v188, v187, -1                           // 00000000B8F0: D11000BC 000183BB
	v_accvgpr_read_b32 v189, a99                               // 00000000B8F8: D3D840BD 18000163
	v_cndmask_b32_e32 v189, 0, v189, vcc                       // 00000000B900: 017B7A80
	v_and_b32_e32 v189, v189, v188                             // 00000000B904: 277B79BD
	v_accvgpr_write_b32 a99, v189                              // 00000000B908: D3D94063 180001BD
	v_accvgpr_read_b32 v189, a115                              // 00000000B910: D3D840BD 18000173
	v_cndmask_b32_e32 v189, 0, v189, vcc                       // 00000000B918: 017B7A80
	v_and_b32_e32 v189, v189, v188                             // 00000000B91C: 277B79BD
	v_accvgpr_write_b32 a115, v189                             // 00000000B920: D3D94073 180001BD
	s_mov_b32 s54, 64                                          // 00000000B928: BEB600C0
	v_add_i32 v187, s54, v186                                  // 00000000B92C: D29C00BB 00037436
	v_cmp_lt_i32_e64 vcc, v187, 4                              // 00000000B934: D0C1006A 000109BB
	v_min_u32_e32 v187, 4, v187                                // 00000000B93C: 1D777684
	v_lshlrev_b32_e32 v187, 3, v187                            // 00000000B940: 25777683
	v_lshrrev_b32_e64 v188, v187, -1                           // 00000000B944: D11000BC 000183BB
	v_accvgpr_read_b32 v189, a100                              // 00000000B94C: D3D840BD 18000164
	v_cndmask_b32_e32 v189, 0, v189, vcc                       // 00000000B954: 017B7A80
	v_and_b32_e32 v189, v189, v188                             // 00000000B958: 277B79BD
	v_accvgpr_write_b32 a100, v189                             // 00000000B95C: D3D94064 180001BD
	v_accvgpr_read_b32 v189, a116                              // 00000000B964: D3D840BD 18000174
	v_cndmask_b32_e32 v189, 0, v189, vcc                       // 00000000B96C: 017B7A80
	v_and_b32_e32 v189, v189, v188                             // 00000000B970: 277B79BD
	v_accvgpr_write_b32 a116, v189                             // 00000000B974: D3D94074 180001BD
	s_mov_b32 s54, 0x44                                        // 00000000B97C: BEB600FF 00000044
	v_add_i32 v187, s54, v186                                  // 00000000B984: D29C00BB 00037436
	v_cmp_lt_i32_e64 vcc, v187, 4                              // 00000000B98C: D0C1006A 000109BB
	v_min_u32_e32 v187, 4, v187                                // 00000000B994: 1D777684
	v_lshlrev_b32_e32 v187, 3, v187                            // 00000000B998: 25777683
	v_lshrrev_b32_e64 v188, v187, -1                           // 00000000B99C: D11000BC 000183BB
	v_accvgpr_read_b32 v189, a101                              // 00000000B9A4: D3D840BD 18000165
	v_cndmask_b32_e32 v189, 0, v189, vcc                       // 00000000B9AC: 017B7A80
	v_and_b32_e32 v189, v189, v188                             // 00000000B9B0: 277B79BD
	v_accvgpr_write_b32 a101, v189                             // 00000000B9B4: D3D94065 180001BD
	v_accvgpr_read_b32 v189, a117                              // 00000000B9BC: D3D840BD 18000175
	v_cndmask_b32_e32 v189, 0, v189, vcc                       // 00000000B9C4: 017B7A80
	v_and_b32_e32 v189, v189, v188                             // 00000000B9C8: 277B79BD
	v_accvgpr_write_b32 a117, v189                             // 00000000B9CC: D3D94075 180001BD
	s_mov_b32 s54, 0x48                                        // 00000000B9D4: BEB600FF 00000048
	v_add_i32 v187, s54, v186                                  // 00000000B9DC: D29C00BB 00037436
	v_cmp_lt_i32_e64 vcc, v187, 4                              // 00000000B9E4: D0C1006A 000109BB
	v_min_u32_e32 v187, 4, v187                                // 00000000B9EC: 1D777684
	v_lshlrev_b32_e32 v187, 3, v187                            // 00000000B9F0: 25777683
	v_lshrrev_b32_e64 v188, v187, -1                           // 00000000B9F4: D11000BC 000183BB
	v_accvgpr_read_b32 v189, a102                              // 00000000B9FC: D3D840BD 18000166
	v_cndmask_b32_e32 v189, 0, v189, vcc                       // 00000000BA04: 017B7A80
	v_and_b32_e32 v189, v189, v188                             // 00000000BA08: 277B79BD
	v_accvgpr_write_b32 a102, v189                             // 00000000BA0C: D3D94066 180001BD
	v_accvgpr_read_b32 v189, a118                              // 00000000BA14: D3D840BD 18000176
	v_cndmask_b32_e32 v189, 0, v189, vcc                       // 00000000BA1C: 017B7A80
	v_and_b32_e32 v189, v189, v188                             // 00000000BA20: 277B79BD
	v_accvgpr_write_b32 a118, v189                             // 00000000BA24: D3D94076 180001BD
	s_mov_b32 s54, 0x4c                                        // 00000000BA2C: BEB600FF 0000004C
	v_add_i32 v187, s54, v186                                  // 00000000BA34: D29C00BB 00037436
	v_cmp_lt_i32_e64 vcc, v187, 4                              // 00000000BA3C: D0C1006A 000109BB
	v_min_u32_e32 v187, 4, v187                                // 00000000BA44: 1D777684
	v_lshlrev_b32_e32 v187, 3, v187                            // 00000000BA48: 25777683
	v_lshrrev_b32_e64 v188, v187, -1                           // 00000000BA4C: D11000BC 000183BB
	v_accvgpr_read_b32 v189, a103                              // 00000000BA54: D3D840BD 18000167
	v_cndmask_b32_e32 v189, 0, v189, vcc                       // 00000000BA5C: 017B7A80
	v_and_b32_e32 v189, v189, v188                             // 00000000BA60: 277B79BD
	v_accvgpr_write_b32 a103, v189                             // 00000000BA64: D3D94067 180001BD
	v_accvgpr_read_b32 v189, a119                              // 00000000BA6C: D3D840BD 18000177
	v_cndmask_b32_e32 v189, 0, v189, vcc                       // 00000000BA74: 017B7A80
	v_and_b32_e32 v189, v189, v188                             // 00000000BA78: 277B79BD
	v_accvgpr_write_b32 a119, v189                             // 00000000BA7C: D3D94077 180001BD
	s_mov_b32 s54, 0x80                                        // 00000000BA84: BEB600FF 00000080
	v_add_i32 v187, s54, v186                                  // 00000000BA8C: D29C00BB 00037436
	v_cmp_lt_i32_e64 vcc, v187, 4                              // 00000000BA94: D0C1006A 000109BB
	v_min_u32_e32 v187, 4, v187                                // 00000000BA9C: 1D777684
	v_lshlrev_b32_e32 v187, 3, v187                            // 00000000BAA0: 25777683
	v_lshrrev_b32_e64 v188, v187, -1                           // 00000000BAA4: D11000BC 000183BB
	v_accvgpr_read_b32 v189, a104                              // 00000000BAAC: D3D840BD 18000168
	v_cndmask_b32_e32 v189, 0, v189, vcc                       // 00000000BAB4: 017B7A80
	v_and_b32_e32 v189, v189, v188                             // 00000000BAB8: 277B79BD
	v_accvgpr_write_b32 a104, v189                             // 00000000BABC: D3D94068 180001BD
	v_accvgpr_read_b32 v189, a120                              // 00000000BAC4: D3D840BD 18000178
	v_cndmask_b32_e32 v189, 0, v189, vcc                       // 00000000BACC: 017B7A80
	v_and_b32_e32 v189, v189, v188                             // 00000000BAD0: 277B79BD
	v_accvgpr_write_b32 a120, v189                             // 00000000BAD4: D3D94078 180001BD
	s_mov_b32 s54, 0x84                                        // 00000000BADC: BEB600FF 00000084
	v_add_i32 v187, s54, v186                                  // 00000000BAE4: D29C00BB 00037436
	v_cmp_lt_i32_e64 vcc, v187, 4                              // 00000000BAEC: D0C1006A 000109BB
	v_min_u32_e32 v187, 4, v187                                // 00000000BAF4: 1D777684
	v_lshlrev_b32_e32 v187, 3, v187                            // 00000000BAF8: 25777683
	v_lshrrev_b32_e64 v188, v187, -1                           // 00000000BAFC: D11000BC 000183BB
	v_accvgpr_read_b32 v189, a105                              // 00000000BB04: D3D840BD 18000169
	v_cndmask_b32_e32 v189, 0, v189, vcc                       // 00000000BB0C: 017B7A80
	v_and_b32_e32 v189, v189, v188                             // 00000000BB10: 277B79BD
	v_accvgpr_write_b32 a105, v189                             // 00000000BB14: D3D94069 180001BD
	v_accvgpr_read_b32 v189, a121                              // 00000000BB1C: D3D840BD 18000179
	v_cndmask_b32_e32 v189, 0, v189, vcc                       // 00000000BB24: 017B7A80
	v_and_b32_e32 v189, v189, v188                             // 00000000BB28: 277B79BD
	v_accvgpr_write_b32 a121, v189                             // 00000000BB2C: D3D94079 180001BD
	s_mov_b32 s54, 0x88                                        // 00000000BB34: BEB600FF 00000088
	v_add_i32 v187, s54, v186                                  // 00000000BB3C: D29C00BB 00037436
	v_cmp_lt_i32_e64 vcc, v187, 4                              // 00000000BB44: D0C1006A 000109BB
	v_min_u32_e32 v187, 4, v187                                // 00000000BB4C: 1D777684
	v_lshlrev_b32_e32 v187, 3, v187                            // 00000000BB50: 25777683
	v_lshrrev_b32_e64 v188, v187, -1                           // 00000000BB54: D11000BC 000183BB
	v_accvgpr_read_b32 v189, a106                              // 00000000BB5C: D3D840BD 1800016A
	v_cndmask_b32_e32 v189, 0, v189, vcc                       // 00000000BB64: 017B7A80
	v_and_b32_e32 v189, v189, v188                             // 00000000BB68: 277B79BD
	v_accvgpr_write_b32 a106, v189                             // 00000000BB6C: D3D9406A 180001BD
	v_accvgpr_read_b32 v189, a122                              // 00000000BB74: D3D840BD 1800017A
	v_cndmask_b32_e32 v189, 0, v189, vcc                       // 00000000BB7C: 017B7A80
	v_and_b32_e32 v189, v189, v188                             // 00000000BB80: 277B79BD
	v_accvgpr_write_b32 a122, v189                             // 00000000BB84: D3D9407A 180001BD
	s_mov_b32 s54, 0x8c                                        // 00000000BB8C: BEB600FF 0000008C
	v_add_i32 v187, s54, v186                                  // 00000000BB94: D29C00BB 00037436
	v_cmp_lt_i32_e64 vcc, v187, 4                              // 00000000BB9C: D0C1006A 000109BB
	v_min_u32_e32 v187, 4, v187                                // 00000000BBA4: 1D777684
	v_lshlrev_b32_e32 v187, 3, v187                            // 00000000BBA8: 25777683
	v_lshrrev_b32_e64 v188, v187, -1                           // 00000000BBAC: D11000BC 000183BB
	v_accvgpr_read_b32 v189, a107                              // 00000000BBB4: D3D840BD 1800016B
	v_cndmask_b32_e32 v189, 0, v189, vcc                       // 00000000BBBC: 017B7A80
	v_and_b32_e32 v189, v189, v188                             // 00000000BBC0: 277B79BD
	v_accvgpr_write_b32 a107, v189                             // 00000000BBC4: D3D9406B 180001BD
	v_accvgpr_read_b32 v189, a123                              // 00000000BBCC: D3D840BD 1800017B
	v_cndmask_b32_e32 v189, 0, v189, vcc                       // 00000000BBD4: 017B7A80
	v_and_b32_e32 v189, v189, v188                             // 00000000BBD8: 277B79BD
	v_accvgpr_write_b32 a123, v189                             // 00000000BBDC: D3D9407B 180001BD
	s_mov_b32 s54, 0xc0                                        // 00000000BBE4: BEB600FF 000000C0
	v_add_i32 v187, s54, v186                                  // 00000000BBEC: D29C00BB 00037436
	v_cmp_lt_i32_e64 vcc, v187, 4                              // 00000000BBF4: D0C1006A 000109BB
	v_min_u32_e32 v187, 4, v187                                // 00000000BBFC: 1D777684
	v_lshlrev_b32_e32 v187, 3, v187                            // 00000000BC00: 25777683
	v_lshrrev_b32_e64 v188, v187, -1                           // 00000000BC04: D11000BC 000183BB
	v_accvgpr_read_b32 v189, a108                              // 00000000BC0C: D3D840BD 1800016C
	v_cndmask_b32_e32 v189, 0, v189, vcc                       // 00000000BC14: 017B7A80
	v_and_b32_e32 v189, v189, v188                             // 00000000BC18: 277B79BD
	v_accvgpr_write_b32 a108, v189                             // 00000000BC1C: D3D9406C 180001BD
	v_accvgpr_read_b32 v189, a124                              // 00000000BC24: D3D840BD 1800017C
	v_cndmask_b32_e32 v189, 0, v189, vcc                       // 00000000BC2C: 017B7A80
	v_and_b32_e32 v189, v189, v188                             // 00000000BC30: 277B79BD
	v_accvgpr_write_b32 a124, v189                             // 00000000BC34: D3D9407C 180001BD
	s_mov_b32 s54, 0xc4                                        // 00000000BC3C: BEB600FF 000000C4
	v_add_i32 v187, s54, v186                                  // 00000000BC44: D29C00BB 00037436
	v_cmp_lt_i32_e64 vcc, v187, 4                              // 00000000BC4C: D0C1006A 000109BB
	v_min_u32_e32 v187, 4, v187                                // 00000000BC54: 1D777684
	v_lshlrev_b32_e32 v187, 3, v187                            // 00000000BC58: 25777683
	v_lshrrev_b32_e64 v188, v187, -1                           // 00000000BC5C: D11000BC 000183BB
	v_accvgpr_read_b32 v189, a109                              // 00000000BC64: D3D840BD 1800016D
	v_cndmask_b32_e32 v189, 0, v189, vcc                       // 00000000BC6C: 017B7A80
	v_and_b32_e32 v189, v189, v188                             // 00000000BC70: 277B79BD
	v_accvgpr_write_b32 a109, v189                             // 00000000BC74: D3D9406D 180001BD
	v_accvgpr_read_b32 v189, a125                              // 00000000BC7C: D3D840BD 1800017D
	v_cndmask_b32_e32 v189, 0, v189, vcc                       // 00000000BC84: 017B7A80
	v_and_b32_e32 v189, v189, v188                             // 00000000BC88: 277B79BD
	v_accvgpr_write_b32 a125, v189                             // 00000000BC8C: D3D9407D 180001BD
	s_mov_b32 s54, 0xc8                                        // 00000000BC94: BEB600FF 000000C8
	v_add_i32 v187, s54, v186                                  // 00000000BC9C: D29C00BB 00037436
	v_cmp_lt_i32_e64 vcc, v187, 4                              // 00000000BCA4: D0C1006A 000109BB
	v_min_u32_e32 v187, 4, v187                                // 00000000BCAC: 1D777684
	v_lshlrev_b32_e32 v187, 3, v187                            // 00000000BCB0: 25777683
	v_lshrrev_b32_e64 v188, v187, -1                           // 00000000BCB4: D11000BC 000183BB
	v_accvgpr_read_b32 v189, a110                              // 00000000BCBC: D3D840BD 1800016E
	v_cndmask_b32_e32 v189, 0, v189, vcc                       // 00000000BCC4: 017B7A80
	v_and_b32_e32 v189, v189, v188                             // 00000000BCC8: 277B79BD
	v_accvgpr_write_b32 a110, v189                             // 00000000BCCC: D3D9406E 180001BD
	v_accvgpr_read_b32 v189, a126                              // 00000000BCD4: D3D840BD 1800017E
	v_cndmask_b32_e32 v189, 0, v189, vcc                       // 00000000BCDC: 017B7A80
	v_and_b32_e32 v189, v189, v188                             // 00000000BCE0: 277B79BD
	v_accvgpr_write_b32 a126, v189                             // 00000000BCE4: D3D9407E 180001BD
	s_mov_b32 s54, 0xcc                                        // 00000000BCEC: BEB600FF 000000CC
	v_add_i32 v187, s54, v186                                  // 00000000BCF4: D29C00BB 00037436
	v_cmp_lt_i32_e64 vcc, v187, 4                              // 00000000BCFC: D0C1006A 000109BB
	v_min_u32_e32 v187, 4, v187                                // 00000000BD04: 1D777684
	v_lshlrev_b32_e32 v187, 3, v187                            // 00000000BD08: 25777683
	v_lshrrev_b32_e64 v188, v187, -1                           // 00000000BD0C: D11000BC 000183BB
	v_accvgpr_read_b32 v189, a111                              // 00000000BD14: D3D840BD 1800016F
	v_cndmask_b32_e32 v189, 0, v189, vcc                       // 00000000BD1C: 017B7A80
	v_and_b32_e32 v189, v189, v188                             // 00000000BD20: 277B79BD
	v_accvgpr_write_b32 a111, v189                             // 00000000BD24: D3D9406F 180001BD
	v_accvgpr_read_b32 v189, a127                              // 00000000BD2C: D3D840BD 1800017F
	v_cndmask_b32_e32 v189, 0, v189, vcc                       // 00000000BD34: 017B7A80
	v_and_b32_e32 v189, v189, v188                             // 00000000BD38: 277B79BD
	v_accvgpr_write_b32 a127, v189                             // 00000000BD3C: D3D9407F 180001BD
	s_waitcnt lgkmcnt(7)                                       // 00000000BD44: BF8CC77F
	v_mfma_f32_16x16x32_fp8_fp8 v[92:95], a[96:97], v[28:29], 0// 00000000BD48: D3F3005C 0A023960
	v_mfma_f32_16x16x32_fp8_fp8 v[96:99], a[112:113], v[28:29], 0// 00000000BD50: D3F30060 0A023970
	v_mfma_f32_16x16x32_fp8_fp8 v[92:95], a[98:99], v[30:31], v[92:95]// 00000000BD58: D3F3005C 0D723D62
	buffer_load_dwordx4 a[64:67], v204, s[16:19], 0 offen      // 00000000BD60: E05C1000 808440CC
	v_mfma_f32_16x16x32_fp8_fp8 v[96:99], a[114:115], v[30:31], v[96:99]// 00000000BD68: D3F30060 0D823D72
	s_waitcnt lgkmcnt(6)                                       // 00000000BD70: BF8CC67F
	v_mfma_f32_16x16x32_fp8_fp8 v[92:95], a[100:101], v[32:33], v[92:95]// 00000000BD74: D3F3005C 0D724164
	v_mfma_f32_16x16x32_fp8_fp8 v[96:99], a[116:117], v[32:33], v[96:99]// 00000000BD7C: D3F30060 0D824174
	v_mfma_f32_16x16x32_fp8_fp8 v[92:95], a[102:103], v[34:35], v[92:95]// 00000000BD84: D3F3005C 0D724566
	buffer_load_dwordx4 a[68:71], v205, s[16:19], 0 offen      // 00000000BD8C: E05C1000 808444CD
	v_mfma_f32_16x16x32_fp8_fp8 v[96:99], a[118:119], v[34:35], v[96:99]// 00000000BD94: D3F30060 0D824576
	s_waitcnt lgkmcnt(5)                                       // 00000000BD9C: BF8CC57F
	v_mfma_f32_16x16x32_fp8_fp8 v[92:95], a[104:105], v[36:37], v[92:95]// 00000000BDA0: D3F3005C 0D724968
	v_mfma_f32_16x16x32_fp8_fp8 v[96:99], a[120:121], v[36:37], v[96:99]// 00000000BDA8: D3F30060 0D824978
	v_mfma_f32_16x16x32_fp8_fp8 v[92:95], a[106:107], v[38:39], v[92:95]// 00000000BDB0: D3F3005C 0D724D6A
	buffer_load_dwordx4 a[72:75], v206, s[16:19], 0 offen      // 00000000BDB8: E05C1000 808448CE
	v_mfma_f32_16x16x32_fp8_fp8 v[96:99], a[122:123], v[38:39], v[96:99]// 00000000BDC0: D3F30060 0D824D7A
	s_waitcnt lgkmcnt(4)                                       // 00000000BDC8: BF8CC47F
	v_mfma_f32_16x16x32_fp8_fp8 v[92:95], a[108:109], v[40:41], v[92:95]// 00000000BDCC: D3F3005C 0D72516C
	v_mfma_f32_16x16x32_fp8_fp8 v[96:99], a[124:125], v[40:41], v[96:99]// 00000000BDD4: D3F30060 0D82517C
	v_mfma_f32_16x16x32_fp8_fp8 v[92:95], a[110:111], v[42:43], v[92:95]// 00000000BDDC: D3F3005C 0D72556E
	buffer_load_dwordx4 a[76:79], v207, s[16:19], 0 offen      // 00000000BDE4: E05C1000 80844CCF
	v_mfma_f32_16x16x32_fp8_fp8 v[96:99], a[126:127], v[42:43], v[96:99]// 00000000BDEC: D3F30060 0D82557E
	s_waitcnt lgkmcnt(3)                                       // 00000000BDF4: BF8CC37F
	v_mfma_f32_16x16x32_fp8_fp8 v[100:103], a[96:97], v[44:45], 0// 00000000BDF8: D3F30064 0A025960
	v_mfma_f32_16x16x32_fp8_fp8 v[104:107], a[112:113], v[44:45], 0// 00000000BE00: D3F30068 0A025970
	v_mfma_f32_16x16x32_fp8_fp8 v[100:103], a[98:99], v[46:47], v[100:103]// 00000000BE08: D3F30064 0D925D62
	buffer_load_dwordx4 a[80:83], v204, s[16:19], 0 offen offset:1024// 00000000BE10: E05C1400 808450CC
	v_mfma_f32_16x16x32_fp8_fp8 v[104:107], a[114:115], v[46:47], v[104:107]// 00000000BE18: D3F30068 0DA25D72
	s_waitcnt lgkmcnt(2)                                       // 00000000BE20: BF8CC27F
	v_mfma_f32_16x16x32_fp8_fp8 v[100:103], a[100:101], v[48:49], v[100:103]// 00000000BE24: D3F30064 0D926164
	v_mfma_f32_16x16x32_fp8_fp8 v[104:107], a[116:117], v[48:49], v[104:107]// 00000000BE2C: D3F30068 0DA26174
	v_mfma_f32_16x16x32_fp8_fp8 v[100:103], a[102:103], v[50:51], v[100:103]// 00000000BE34: D3F30064 0D926566
	buffer_load_dwordx4 a[84:87], v205, s[16:19], 0 offen offset:1024// 00000000BE3C: E05C1400 808454CD
	v_mfma_f32_16x16x32_fp8_fp8 v[104:107], a[118:119], v[50:51], v[104:107]// 00000000BE44: D3F30068 0DA26576
	s_waitcnt lgkmcnt(1)                                       // 00000000BE4C: BF8CC17F
	v_mfma_f32_16x16x32_fp8_fp8 v[100:103], a[104:105], v[52:53], v[100:103]// 00000000BE50: D3F30064 0D926968
	v_mfma_f32_16x16x32_fp8_fp8 v[104:107], a[120:121], v[52:53], v[104:107]// 00000000BE58: D3F30068 0DA26978
	v_mfma_f32_16x16x32_fp8_fp8 v[100:103], a[106:107], v[54:55], v[100:103]// 00000000BE60: D3F30064 0D926D6A
	buffer_load_dwordx4 a[88:91], v206, s[16:19], 0 offen offset:1024// 00000000BE68: E05C1400 808458CE
	v_mfma_f32_16x16x32_fp8_fp8 v[104:107], a[122:123], v[54:55], v[104:107]// 00000000BE70: D3F30068 0DA26D7A
	s_waitcnt lgkmcnt(0)                                       // 00000000BE78: BF8CC07F
	v_mfma_f32_16x16x32_fp8_fp8 v[100:103], a[108:109], v[56:57], v[100:103]// 00000000BE7C: D3F30064 0D92716C
	v_mfma_f32_16x16x32_fp8_fp8 v[104:107], a[124:125], v[56:57], v[104:107]// 00000000BE84: D3F30068 0DA2717C
	v_mfma_f32_16x16x32_fp8_fp8 v[100:103], a[110:111], v[58:59], v[100:103]// 00000000BE8C: D3F30064 0D92756E
	buffer_load_dwordx4 a[92:95], v207, s[16:19], 0 offen offset:1024// 00000000BE94: E05C1400 80845CCF
	v_mfma_f32_16x16x32_fp8_fp8 v[104:107], a[126:127], v[58:59], v[104:107]// 00000000BE9C: D3F30068 0DA2757E
	s_addk_i32 s64, 0x100                                      // 00000000BEA4: B7400100

000000000000bea8 <label_262A>:
	s_cmp_lt_i32 s64, s62                                      // 00000000BEA8: BF043E40
	s_cbranch_scc0 label_313C                                  // 00000000BEAC: BF840B10
	s_waitcnt vmcnt(10)                                        // 00000000BEB0: BF8C0F7A
	v_mfma_f32_16x16x32_fp8_fp8 v[28:31], a[0:1], v[12:13], 0  // 00000000BEB4: D3F3001C 0A021900
	s_add_u32 s12, s86, s69                                    // 00000000BEBC: 800C4556
	s_addc_u32 s13, s87, 0                                     // 00000000BEC0: 820D8057
	v_mfma_f32_16x16x32_fp8_fp8 v[28:31], a[2:3], v[14:15], v[28:31]// 00000000BEC4: D3F3001C 0C721D02
	s_add_u32 s16, s88, s70                                    // 00000000BECC: 80104658
	s_addc_u32 s17, s89, 0                                     // 00000000BED0: 82118059
	v_mfma_f32_16x16x32_fp8_fp8 v[28:31], a[4:5], v[16:17], v[28:31]// 00000000BED4: D3F3001C 0C722104
	buffer_load_dwordx4 a[32:35], v202, s[12:15], 0 offen      // 00000000BEDC: E05C1000 808320CA
	v_mfma_f32_16x16x32_fp8_fp8 v[28:31], a[6:7], v[18:19], v[28:31]// 00000000BEE4: D3F3001C 0C722506
	s_add_u32 s20, s90, s71                                    // 00000000BEEC: 8014475A
	s_addc_u32 s21, s91, 0                                     // 00000000BEF0: 8215805B
	v_mfma_f32_16x16x32_fp8_fp8 v[32:35], a[8:9], v[12:13], 0  // 00000000BEF4: D3F30020 0A021908
	s_add_u32 s24, s92, s71                                    // 00000000BEFC: 8018475C
	s_addc_u32 s25, s93, 0                                     // 00000000BF00: 8219805D
	v_mfma_f32_16x16x32_fp8_fp8 v[32:35], a[10:11], v[14:15], v[32:35]// 00000000BF04: D3F30020 0C821D0A
	s_mul_i32 s69, s59, s50                                    // 00000000BF0C: 9245323B
	s_mul_i32 s71, s59, s66                                    // 00000000BF10: 9247423B
	v_mfma_f32_16x16x32_fp8_fp8 v[32:35], a[12:13], v[16:17], v[32:35]// 00000000BF14: D3F30020 0C82210C
	buffer_load_dwordx4 a[36:39], v203, s[12:15], 0 offen      // 00000000BF1C: E05C1000 808324CB
	v_mfma_f32_16x16x32_fp8_fp8 v[32:35], a[14:15], v[18:19], v[32:35]// 00000000BF24: D3F30020 0C82250E
	s_mul_i32 s54, s78, s51                                    // 00000000BF2C: 9236334E
	s_add_u32 s69, s69, s54                                    // 00000000BF30: 80453645
	v_mfma_f32_16x16x32_fp8_fp8 v[36:39], a[16:17], v[12:13], 0// 00000000BF34: D3F30024 0A021910
	s_mov_b32 s70, s69                                         // 00000000BF3C: BEC60045
	v_mfma_f32_16x16x32_fp8_fp8 v[36:39], a[18:19], v[14:15], v[36:39]// 00000000BF40: D3F30024 0C921D12
	s_mul_i32 s54, s78, 4                                      // 00000000BF48: 9236844E
	s_add_u32 s71, s71, s54                                    // 00000000BF4C: 80473647
	v_mfma_f32_16x16x32_fp8_fp8 v[36:39], a[20:21], v[16:17], v[36:39]// 00000000BF50: D3F30024 0C922114
	buffer_load_dwordx4 a[40:43], v202, s[12:15], 0 offen offset:1024// 00000000BF58: E05C1400 808328CA
	v_mfma_f32_16x16x32_fp8_fp8 v[36:39], a[22:23], v[18:19], v[36:39]// 00000000BF60: D3F30024 0C922516
	v_mfma_f32_16x16x32_fp8_fp8 v[40:43], a[24:25], v[12:13], 0// 00000000BF68: D3F30028 0A021918
	v_mfma_f32_16x16x32_fp8_fp8 v[40:43], a[26:27], v[14:15], v[40:43]// 00000000BF70: D3F30028 0CA21D1A
	v_mfma_f32_16x16x32_fp8_fp8 v[40:43], a[28:29], v[16:17], v[40:43]// 00000000BF78: D3F30028 0CA2211C
	buffer_load_dwordx4 a[44:47], v203, s[12:15], 0 offen offset:1024// 00000000BF80: E05C1400 80832CCB
	v_mfma_f32_16x16x32_fp8_fp8 v[40:43], a[30:31], v[18:19], v[40:43]// 00000000BF88: D3F30028 0CA2251E
	v_mfma_f32_16x16x32_fp8_fp8 v[44:47], a[0:1], v[20:21], 0  // 00000000BF90: D3F3002C 0A022900
	v_mfma_f32_16x16x32_fp8_fp8 v[44:47], a[2:3], v[22:23], v[44:47]// 00000000BF98: D3F3002C 0CB22D02
	v_mfma_f32_16x16x32_fp8_fp8 v[44:47], a[4:5], v[24:25], v[44:47]// 00000000BFA0: D3F3002C 0CB23104
	buffer_load_dwordx4 a[48:51], v202, s[12:15], 0 offen offset:2048// 00000000BFA8: E05C1800 808330CA
	v_mfma_f32_16x16x32_fp8_fp8 v[44:47], a[6:7], v[26:27], v[44:47]// 00000000BFB0: D3F3002C 0CB23506
	v_mfma_f32_16x16x32_fp8_fp8 v[48:51], a[8:9], v[20:21], 0  // 00000000BFB8: D3F30030 0A022908
	v_mfma_f32_16x16x32_fp8_fp8 v[48:51], a[10:11], v[22:23], v[48:51]// 00000000BFC0: D3F30030 0CC22D0A
	v_mfma_f32_16x16x32_fp8_fp8 v[48:51], a[12:13], v[24:25], v[48:51]// 00000000BFC8: D3F30030 0CC2310C
	buffer_load_dwordx4 a[52:55], v203, s[12:15], 0 offen offset:2048// 00000000BFD0: E05C1800 808334CB
	v_mfma_f32_16x16x32_fp8_fp8 v[48:51], a[14:15], v[26:27], v[48:51]// 00000000BFD8: D3F30030 0CC2350E
	v_mfma_f32_16x16x32_fp8_fp8 v[52:55], a[16:17], v[20:21], 0// 00000000BFE0: D3F30034 0A022910
	v_mfma_f32_16x16x32_fp8_fp8 v[52:55], a[18:19], v[22:23], v[52:55]// 00000000BFE8: D3F30034 0CD22D12
	v_mfma_f32_16x16x32_fp8_fp8 v[52:55], a[20:21], v[24:25], v[52:55]// 00000000BFF0: D3F30034 0CD23114
	buffer_load_dwordx4 a[56:59], v202, s[12:15], 0 offen offset:3072// 00000000BFF8: E05C1C00 808338CA
	v_mfma_f32_16x16x32_fp8_fp8 v[52:55], a[22:23], v[26:27], v[52:55]// 00000000C000: D3F30034 0CD23516
	v_mfma_f32_16x16x32_fp8_fp8 v[56:59], a[24:25], v[20:21], 0// 00000000C008: D3F30038 0A022918
	v_mfma_f32_16x16x32_fp8_fp8 v[56:59], a[26:27], v[22:23], v[56:59]// 00000000C010: D3F30038 0CE22D1A
	v_mfma_f32_16x16x32_fp8_fp8 v[56:59], a[28:29], v[24:25], v[56:59]// 00000000C018: D3F30038 0CE2311C
	buffer_load_dwordx4 a[60:63], v203, s[12:15], 0 offen offset:3072// 00000000C020: E05C1C00 80833CCB
	v_mfma_f32_16x16x32_fp8_fp8 v[56:59], a[30:31], v[26:27], v[56:59]// 00000000C028: D3F30038 0CE2351E
	s_waitcnt vmcnt(16)                                        // 00000000C030: BF8C4F70
	v_pk_mul_f32 v[28:29], v[124:125], v[28:29]                // 00000000C034: D3B1401C 1802397C
	v_pk_mul_f32 v[30:31], v[124:125], v[30:31]                // 00000000C03C: D3B1401E 18023D7C
	v_mul_f32_dpp v28, v128, v28 row_newbcast:0 row_mask:0xf bank_mask:0xf// 00000000C044: 0A3838FA FF015080
	v_mul_f32_dpp v29, v128, v29 row_newbcast:1 row_mask:0xf bank_mask:0xf// 00000000C04C: 0A3A3AFA FF015180
	v_mul_f32_dpp v30, v128, v30 row_newbcast:2 row_mask:0xf bank_mask:0xf// 00000000C054: 0A3C3CFA FF015280
	v_mul_f32_dpp v31, v128, v31 row_newbcast:3 row_mask:0xf bank_mask:0xf// 00000000C05C: 0A3E3EFA FF015380
	v_pk_mul_f32 v[32:33], v[124:125], v[32:33]                // 00000000C064: D3B14020 1802417C
	v_pk_mul_f32 v[34:35], v[124:125], v[34:35]                // 00000000C06C: D3B14022 1802457C
	v_mul_f32_dpp v32, v128, v32 row_newbcast:4 row_mask:0xf bank_mask:0xf// 00000000C074: 0A4040FA FF015480
	v_mul_f32_dpp v33, v128, v33 row_newbcast:5 row_mask:0xf bank_mask:0xf// 00000000C07C: 0A4242FA FF015580
	v_mul_f32_dpp v34, v128, v34 row_newbcast:6 row_mask:0xf bank_mask:0xf// 00000000C084: 0A4444FA FF015680
	v_mul_f32_dpp v35, v128, v35 row_newbcast:7 row_mask:0xf bank_mask:0xf// 00000000C08C: 0A4646FA FF015780
	v_pk_mul_f32 v[36:37], v[124:125], v[36:37]                // 00000000C094: D3B14024 1802497C
	v_pk_mul_f32 v[38:39], v[124:125], v[38:39]                // 00000000C09C: D3B14026 18024D7C
	v_mul_f32_dpp v36, v128, v36 row_newbcast:8 row_mask:0xf bank_mask:0xf// 00000000C0A4: 0A4848FA FF015880
	v_mul_f32_dpp v37, v128, v37 row_newbcast:9 row_mask:0xf bank_mask:0xf// 00000000C0AC: 0A4A4AFA FF015980
	v_mul_f32_dpp v38, v128, v38 row_newbcast:10 row_mask:0xf bank_mask:0xf// 00000000C0B4: 0A4C4CFA FF015A80
	v_mul_f32_dpp v39, v128, v39 row_newbcast:11 row_mask:0xf bank_mask:0xf// 00000000C0BC: 0A4E4EFA FF015B80
	v_pk_mul_f32 v[40:41], v[124:125], v[40:41]                // 00000000C0C4: D3B14028 1802517C
	v_pk_mul_f32 v[42:43], v[124:125], v[42:43]                // 00000000C0CC: D3B1402A 1802557C
	v_mul_f32_dpp v40, v128, v40 row_newbcast:12 row_mask:0xf bank_mask:0xf// 00000000C0D4: 0A5050FA FF015C80
	v_mul_f32_dpp v41, v128, v41 row_newbcast:13 row_mask:0xf bank_mask:0xf// 00000000C0DC: 0A5252FA FF015D80
	v_mul_f32_dpp v42, v128, v42 row_newbcast:14 row_mask:0xf bank_mask:0xf// 00000000C0E4: 0A5454FA FF015E80
	v_mul_f32_dpp v43, v128, v43 row_newbcast:15 row_mask:0xf bank_mask:0xf// 00000000C0EC: 0A5656FA FF015F80
	v_pk_mul_f32 v[44:45], v[126:127], v[44:45]                // 00000000C0F4: D3B1402C 1802597E
	v_pk_mul_f32 v[46:47], v[126:127], v[46:47]                // 00000000C0FC: D3B1402E 18025D7E
	v_mul_f32_dpp v44, v128, v44 row_newbcast:0 row_mask:0xf bank_mask:0xf// 00000000C104: 0A5858FA FF015080
	v_mul_f32_dpp v45, v128, v45 row_newbcast:1 row_mask:0xf bank_mask:0xf// 00000000C10C: 0A5A5AFA FF015180
	v_mul_f32_dpp v46, v128, v46 row_newbcast:2 row_mask:0xf bank_mask:0xf// 00000000C114: 0A5C5CFA FF015280
	v_mul_f32_dpp v47, v128, v47 row_newbcast:3 row_mask:0xf bank_mask:0xf// 00000000C11C: 0A5E5EFA FF015380
	v_pk_mul_f32 v[48:49], v[126:127], v[48:49]                // 00000000C124: D3B14030 1802617E
	v_pk_mul_f32 v[50:51], v[126:127], v[50:51]                // 00000000C12C: D3B14032 1802657E
	v_mul_f32_dpp v48, v128, v48 row_newbcast:4 row_mask:0xf bank_mask:0xf// 00000000C134: 0A6060FA FF015480
	v_mul_f32_dpp v49, v128, v49 row_newbcast:5 row_mask:0xf bank_mask:0xf// 00000000C13C: 0A6262FA FF015580
	v_mul_f32_dpp v50, v128, v50 row_newbcast:6 row_mask:0xf bank_mask:0xf// 00000000C144: 0A6464FA FF015680
	v_mul_f32_dpp v51, v128, v51 row_newbcast:7 row_mask:0xf bank_mask:0xf// 00000000C14C: 0A6666FA FF015780
	v_pk_mul_f32 v[52:53], v[126:127], v[52:53]                // 00000000C154: D3B14034 1802697E
	v_pk_mul_f32 v[54:55], v[126:127], v[54:55]                // 00000000C15C: D3B14036 18026D7E
	v_mul_f32_dpp v52, v128, v52 row_newbcast:8 row_mask:0xf bank_mask:0xf// 00000000C164: 0A6868FA FF015880
	v_mul_f32_dpp v53, v128, v53 row_newbcast:9 row_mask:0xf bank_mask:0xf// 00000000C16C: 0A6A6AFA FF015980
	v_mul_f32_dpp v54, v128, v54 row_newbcast:10 row_mask:0xf bank_mask:0xf// 00000000C174: 0A6C6CFA FF015A80
	v_mul_f32_dpp v55, v128, v55 row_newbcast:11 row_mask:0xf bank_mask:0xf// 00000000C17C: 0A6E6EFA FF015B80
	v_pk_mul_f32 v[56:57], v[126:127], v[56:57]                // 00000000C184: D3B14038 1802717E
	v_pk_mul_f32 v[58:59], v[126:127], v[58:59]                // 00000000C18C: D3B1403A 1802757E
	v_mul_f32_dpp v56, v128, v56 row_newbcast:12 row_mask:0xf bank_mask:0xf// 00000000C194: 0A7070FA FF015C80
	v_mul_f32_dpp v57, v128, v57 row_newbcast:13 row_mask:0xf bank_mask:0xf// 00000000C19C: 0A7272FA FF015D80
	v_mul_f32_dpp v58, v128, v58 row_newbcast:14 row_mask:0xf bank_mask:0xf// 00000000C1A4: 0A7474FA FF015E80
	v_mul_f32_dpp v59, v128, v59 row_newbcast:15 row_mask:0xf bank_mask:0xf// 00000000C1AC: 0A7676FA FF015F80
	v_add_u32_e32 v186, s64, v196                              // 00000000C1B4: 69758840
	v_add_u32_e32 v187, 0, v186                                // 00000000C1B8: 69777480
	v_cmp_lt_u32_e64 s[98:99], v187, v194                      // 00000000C1BC: D0C90062 000385BB
	s_nop 0                                                    // 00000000C1C4: BF800000
	v_cndmask_b32_e64 v28, v197, v28, s[98:99]                 // 00000000C1C8: D100001C 018A39C5
	v_add_u32_e32 v187, 1, v186                                // 00000000C1D0: 69777481
	v_cmp_lt_u32_e64 s[98:99], v187, v194                      // 00000000C1D4: D0C90062 000385BB
	s_nop 0                                                    // 00000000C1DC: BF800000
	v_cndmask_b32_e64 v29, v197, v29, s[98:99]                 // 00000000C1E0: D100001D 018A3BC5
	v_add_u32_e32 v187, 2, v186                                // 00000000C1E8: 69777482
	v_cmp_lt_u32_e64 s[98:99], v187, v194                      // 00000000C1EC: D0C90062 000385BB
	s_nop 0                                                    // 00000000C1F4: BF800000
	v_cndmask_b32_e64 v30, v197, v30, s[98:99]                 // 00000000C1F8: D100001E 018A3DC5
	v_add_u32_e32 v187, 3, v186                                // 00000000C200: 69777483
	v_cmp_lt_u32_e64 s[98:99], v187, v194                      // 00000000C204: D0C90062 000385BB
	s_nop 0                                                    // 00000000C20C: BF800000
	v_cndmask_b32_e64 v31, v197, v31, s[98:99]                 // 00000000C210: D100001F 018A3FC5
	v_add_u32_e32 v187, 64, v186                               // 00000000C218: 697774C0
	v_cmp_lt_u32_e64 s[98:99], v187, v194                      // 00000000C21C: D0C90062 000385BB
	s_nop 0                                                    // 00000000C224: BF800000
	v_cndmask_b32_e64 v32, v197, v32, s[98:99]                 // 00000000C228: D1000020 018A41C5
	v_add_u32_e32 v187, 0x41, v186                             // 00000000C230: 697774FF 00000041
	v_cmp_lt_u32_e64 s[98:99], v187, v194                      // 00000000C238: D0C90062 000385BB
	s_nop 0                                                    // 00000000C240: BF800000
	v_cndmask_b32_e64 v33, v197, v33, s[98:99]                 // 00000000C244: D1000021 018A43C5
	v_add_u32_e32 v187, 0x42, v186                             // 00000000C24C: 697774FF 00000042
	v_cmp_lt_u32_e64 s[98:99], v187, v194                      // 00000000C254: D0C90062 000385BB
	s_nop 0                                                    // 00000000C25C: BF800000
	v_cndmask_b32_e64 v34, v197, v34, s[98:99]                 // 00000000C260: D1000022 018A45C5
	v_add_u32_e32 v187, 0x43, v186                             // 00000000C268: 697774FF 00000043
	v_cmp_lt_u32_e64 s[98:99], v187, v194                      // 00000000C270: D0C90062 000385BB
	s_nop 0                                                    // 00000000C278: BF800000
	v_cndmask_b32_e64 v35, v197, v35, s[98:99]                 // 00000000C27C: D1000023 018A47C5
	v_add_u32_e32 v187, 0x80, v186                             // 00000000C284: 697774FF 00000080
	v_cmp_lt_u32_e64 s[98:99], v187, v194                      // 00000000C28C: D0C90062 000385BB
	s_nop 0                                                    // 00000000C294: BF800000
	v_cndmask_b32_e64 v36, v197, v36, s[98:99]                 // 00000000C298: D1000024 018A49C5
	v_add_u32_e32 v187, 0x81, v186                             // 00000000C2A0: 697774FF 00000081
	v_cmp_lt_u32_e64 s[98:99], v187, v194                      // 00000000C2A8: D0C90062 000385BB
	s_nop 0                                                    // 00000000C2B0: BF800000
	v_cndmask_b32_e64 v37, v197, v37, s[98:99]                 // 00000000C2B4: D1000025 018A4BC5
	v_add_u32_e32 v187, 0x82, v186                             // 00000000C2BC: 697774FF 00000082
	v_cmp_lt_u32_e64 s[98:99], v187, v194                      // 00000000C2C4: D0C90062 000385BB
	s_nop 0                                                    // 00000000C2CC: BF800000
	v_cndmask_b32_e64 v38, v197, v38, s[98:99]                 // 00000000C2D0: D1000026 018A4DC5
	v_add_u32_e32 v187, 0x83, v186                             // 00000000C2D8: 697774FF 00000083
	v_cmp_lt_u32_e64 s[98:99], v187, v194                      // 00000000C2E0: D0C90062 000385BB
	s_nop 0                                                    // 00000000C2E8: BF800000
	v_cndmask_b32_e64 v39, v197, v39, s[98:99]                 // 00000000C2EC: D1000027 018A4FC5
	v_add_u32_e32 v187, 0xc0, v186                             // 00000000C2F4: 697774FF 000000C0
	v_cmp_lt_u32_e64 s[98:99], v187, v194                      // 00000000C2FC: D0C90062 000385BB
	s_nop 0                                                    // 00000000C304: BF800000
	v_cndmask_b32_e64 v40, v197, v40, s[98:99]                 // 00000000C308: D1000028 018A51C5
	v_add_u32_e32 v187, 0xc1, v186                             // 00000000C310: 697774FF 000000C1
	v_cmp_lt_u32_e64 s[98:99], v187, v194                      // 00000000C318: D0C90062 000385BB
	s_nop 0                                                    // 00000000C320: BF800000
	v_cndmask_b32_e64 v41, v197, v41, s[98:99]                 // 00000000C324: D1000029 018A53C5
	v_add_u32_e32 v187, 0xc2, v186                             // 00000000C32C: 697774FF 000000C2
	v_cmp_lt_u32_e64 s[98:99], v187, v194                      // 00000000C334: D0C90062 000385BB
	s_nop 0                                                    // 00000000C33C: BF800000
	v_cndmask_b32_e64 v42, v197, v42, s[98:99]                 // 00000000C340: D100002A 018A55C5
	v_add_u32_e32 v187, 0xc3, v186                             // 00000000C348: 697774FF 000000C3
	v_cmp_lt_u32_e64 s[98:99], v187, v194                      // 00000000C350: D0C90062 000385BB
	s_nop 0                                                    // 00000000C358: BF800000
	v_cndmask_b32_e64 v43, v197, v43, s[98:99]                 // 00000000C35C: D100002B 018A57C5
	v_add_u32_e32 v187, 0, v186                                // 00000000C364: 69777480
	v_cmp_lt_u32_e64 s[98:99], v187, v195                      // 00000000C368: D0C90062 000387BB
	s_nop 0                                                    // 00000000C370: BF800000
	v_cndmask_b32_e64 v44, v197, v44, s[98:99]                 // 00000000C374: D100002C 018A59C5
	v_add_u32_e32 v187, 1, v186                                // 00000000C37C: 69777481
	v_cmp_lt_u32_e64 s[98:99], v187, v195                      // 00000000C380: D0C90062 000387BB
	s_nop 0                                                    // 00000000C388: BF800000
	v_cndmask_b32_e64 v45, v197, v45, s[98:99]                 // 00000000C38C: D100002D 018A5BC5
	v_add_u32_e32 v187, 2, v186                                // 00000000C394: 69777482
	v_cmp_lt_u32_e64 s[98:99], v187, v195                      // 00000000C398: D0C90062 000387BB
	s_nop 0                                                    // 00000000C3A0: BF800000
	v_cndmask_b32_e64 v46, v197, v46, s[98:99]                 // 00000000C3A4: D100002E 018A5DC5
	v_add_u32_e32 v187, 3, v186                                // 00000000C3AC: 69777483
	v_cmp_lt_u32_e64 s[98:99], v187, v195                      // 00000000C3B0: D0C90062 000387BB
	s_nop 0                                                    // 00000000C3B8: BF800000
	v_cndmask_b32_e64 v47, v197, v47, s[98:99]                 // 00000000C3BC: D100002F 018A5FC5
	v_add_u32_e32 v187, 64, v186                               // 00000000C3C4: 697774C0
	v_cmp_lt_u32_e64 s[98:99], v187, v195                      // 00000000C3C8: D0C90062 000387BB
	s_nop 0                                                    // 00000000C3D0: BF800000
	v_cndmask_b32_e64 v48, v197, v48, s[98:99]                 // 00000000C3D4: D1000030 018A61C5
	v_add_u32_e32 v187, 0x41, v186                             // 00000000C3DC: 697774FF 00000041
	v_cmp_lt_u32_e64 s[98:99], v187, v195                      // 00000000C3E4: D0C90062 000387BB
	s_nop 0                                                    // 00000000C3EC: BF800000
	v_cndmask_b32_e64 v49, v197, v49, s[98:99]                 // 00000000C3F0: D1000031 018A63C5
	v_add_u32_e32 v187, 0x42, v186                             // 00000000C3F8: 697774FF 00000042
	v_cmp_lt_u32_e64 s[98:99], v187, v195                      // 00000000C400: D0C90062 000387BB
	s_nop 0                                                    // 00000000C408: BF800000
	v_cndmask_b32_e64 v50, v197, v50, s[98:99]                 // 00000000C40C: D1000032 018A65C5
	v_add_u32_e32 v187, 0x43, v186                             // 00000000C414: 697774FF 00000043
	v_cmp_lt_u32_e64 s[98:99], v187, v195                      // 00000000C41C: D0C90062 000387BB
	s_nop 0                                                    // 00000000C424: BF800000
	v_cndmask_b32_e64 v51, v197, v51, s[98:99]                 // 00000000C428: D1000033 018A67C5
	v_add_u32_e32 v187, 0x80, v186                             // 00000000C430: 697774FF 00000080
	v_cmp_lt_u32_e64 s[98:99], v187, v195                      // 00000000C438: D0C90062 000387BB
	s_nop 0                                                    // 00000000C440: BF800000
	v_cndmask_b32_e64 v52, v197, v52, s[98:99]                 // 00000000C444: D1000034 018A69C5
	v_add_u32_e32 v187, 0x81, v186                             // 00000000C44C: 697774FF 00000081
	v_cmp_lt_u32_e64 s[98:99], v187, v195                      // 00000000C454: D0C90062 000387BB
	s_nop 0                                                    // 00000000C45C: BF800000
	v_cndmask_b32_e64 v53, v197, v53, s[98:99]                 // 00000000C460: D1000035 018A6BC5
	v_add_u32_e32 v187, 0x82, v186                             // 00000000C468: 697774FF 00000082
	v_cmp_lt_u32_e64 s[98:99], v187, v195                      // 00000000C470: D0C90062 000387BB
	s_nop 0                                                    // 00000000C478: BF800000
	v_cndmask_b32_e64 v54, v197, v54, s[98:99]                 // 00000000C47C: D1000036 018A6DC5
	v_add_u32_e32 v187, 0x83, v186                             // 00000000C484: 697774FF 00000083
	v_cmp_lt_u32_e64 s[98:99], v187, v195                      // 00000000C48C: D0C90062 000387BB
	s_nop 0                                                    // 00000000C494: BF800000
	v_cndmask_b32_e64 v55, v197, v55, s[98:99]                 // 00000000C498: D1000037 018A6FC5
	v_add_u32_e32 v187, 0xc0, v186                             // 00000000C4A0: 697774FF 000000C0
	v_cmp_lt_u32_e64 s[98:99], v187, v195                      // 00000000C4A8: D0C90062 000387BB
	s_nop 0                                                    // 00000000C4B0: BF800000
	v_cndmask_b32_e64 v56, v197, v56, s[98:99]                 // 00000000C4B4: D1000038 018A71C5
	v_add_u32_e32 v187, 0xc1, v186                             // 00000000C4BC: 697774FF 000000C1
	v_cmp_lt_u32_e64 s[98:99], v187, v195                      // 00000000C4C4: D0C90062 000387BB
	s_nop 0                                                    // 00000000C4CC: BF800000
	v_cndmask_b32_e64 v57, v197, v57, s[98:99]                 // 00000000C4D0: D1000039 018A73C5
	v_add_u32_e32 v187, 0xc2, v186                             // 00000000C4D8: 697774FF 000000C2
	v_cmp_lt_u32_e64 s[98:99], v187, v195                      // 00000000C4E0: D0C90062 000387BB
	s_nop 0                                                    // 00000000C4E8: BF800000
	v_cndmask_b32_e64 v58, v197, v58, s[98:99]                 // 00000000C4EC: D100003A 018A75C5
	v_add_u32_e32 v187, 0xc3, v186                             // 00000000C4F4: 697774FF 000000C3
	v_cmp_lt_u32_e64 s[98:99], v187, v195                      // 00000000C4FC: D0C90062 000387BB
	s_nop 0                                                    // 00000000C504: BF800000
	v_cndmask_b32_e64 v59, v197, v59, s[98:99]                 // 00000000C508: D100003B 018A77C5
	v_mov_b32_e32 v150, v28                                    // 00000000C510: 7F2C031C
	v_max3_f32 v150, v28, v29, v150                            // 00000000C514: D1D30096 065A3B1C
	v_max3_f32 v150, v30, v31, v150                            // 00000000C51C: D1D30096 065A3F1E
	v_max3_f32 v150, v32, v33, v150                            // 00000000C524: D1D30096 065A4320
	v_max3_f32 v150, v34, v35, v150                            // 00000000C52C: D1D30096 065A4722
	v_max3_f32 v150, v36, v37, v150                            // 00000000C534: D1D30096 065A4B24
	v_max3_f32 v150, v38, v39, v150                            // 00000000C53C: D1D30096 065A4F26
	v_max3_f32 v150, v40, v41, v150                            // 00000000C544: D1D30096 065A5328
	v_max3_f32 v150, v42, v43, v150                            // 00000000C54C: D1D30096 065A572A
	v_mov_b32_e32 v151, v44                                    // 00000000C554: 7F2E032C
	v_max3_f32 v151, v44, v45, v151                            // 00000000C558: D1D30097 065E5B2C
	v_max3_f32 v151, v46, v47, v151                            // 00000000C560: D1D30097 065E5F2E
	v_max3_f32 v151, v48, v49, v151                            // 00000000C568: D1D30097 065E6330
	v_max3_f32 v151, v50, v51, v151                            // 00000000C570: D1D30097 065E6732
	v_max3_f32 v151, v52, v53, v151                            // 00000000C578: D1D30097 065E6B34
	v_max3_f32 v151, v54, v55, v151                            // 00000000C580: D1D30097 065E6F36
	v_max3_f32 v151, v56, v57, v151                            // 00000000C588: D1D30097 065E7338
	v_max3_f32 v151, v58, v59, v151                            // 00000000C590: D1D30097 065E773A
	ds_write_b64 v220, v[150:151]                              // 00000000C598: D89A0000 000096DC
	v_pk_mul_f32 v[108:109], v[142:143], v[108:109]            // 00000000C5A0: D3B1406C 1802D98E
	v_pk_mul_f32 v[110:111], v[142:143], v[110:111]            // 00000000C5A8: D3B1406E 1802DD8E
	v_pk_mul_f32 v[112:113], v[142:143], v[112:113]            // 00000000C5B0: D3B14070 1802E18E
	v_pk_mul_f32 v[114:115], v[142:143], v[114:115]            // 00000000C5B8: D3B14072 1802E58E
	v_pk_mul_f32 v[116:117], v[144:145], v[116:117]            // 00000000C5C0: D3B14074 1802E990
	v_pk_mul_f32 v[118:119], v[144:145], v[118:119]            // 00000000C5C8: D3B14076 1802ED90
	v_pk_mul_f32 v[120:121], v[144:145], v[120:121]            // 00000000C5D0: D3B14078 1802F190
	v_pk_mul_f32 v[122:123], v[144:145], v[122:123]            // 00000000C5D8: D3B1407A 1802F590
	s_waitcnt lgkmcnt(0)                                       // 00000000C5E0: BF8CC07F
	s_barrier                                                  // 00000000C5E4: BF8A0000
	ds_read_b64 v[154:155], v221                               // 00000000C5E8: D8EC0000 9A0000DD
	ds_read_b64 v[156:157], v221 offset:128                    // 00000000C5F0: D8EC0080 9C0000DD
	ds_read_b64 v[158:159], v221 offset:256                    // 00000000C5F8: D8EC0100 9E0000DD
	ds_read_b64 v[160:161], v221 offset:384                    // 00000000C600: D8EC0180 A00000DD
	ds_read_b64 v[162:163], v221 offset:512                    // 00000000C608: D8EC0200 A20000DD
	ds_read_b64 v[164:165], v221 offset:640                    // 00000000C610: D8EC0280 A40000DD
	ds_read_b64 v[166:167], v221 offset:768                    // 00000000C618: D8EC0300 A60000DD
	ds_read_b64 v[168:169], v221 offset:896                    // 00000000C620: D8EC0380 A80000DD
	ds_read_b64 v[170:171], v221 offset:1024                   // 00000000C628: D8EC0400 AA0000DD
	ds_read_b64 v[172:173], v221 offset:1152                   // 00000000C630: D8EC0480 AC0000DD
	ds_read_b64 v[174:175], v221 offset:1280                   // 00000000C638: D8EC0500 AE0000DD
	ds_read_b64 v[176:177], v221 offset:1408                   // 00000000C640: D8EC0580 B00000DD
	ds_read_b64 v[178:179], v221 offset:1536                   // 00000000C648: D8EC0600 B20000DD
	ds_read_b64 v[180:181], v221 offset:1664                   // 00000000C650: D8EC0680 B40000DD
	ds_read_b64 v[182:183], v221 offset:1792                   // 00000000C658: D8EC0700 B60000DD
	ds_read_b64 v[184:185], v221 offset:1920                   // 00000000C660: D8EC0780 B80000DD
	v_pk_mul_f32 v[92:93], v[132:133], v[92:93]                // 00000000C668: D3B1405C 1802B984
	v_pk_mul_f32 v[94:95], v[132:133], v[94:95]                // 00000000C670: D3B1405E 1802BD84
	v_pk_mul_f32 v[96:97], v[132:133], v[96:97]                // 00000000C678: D3B14060 1802C184
	v_pk_mul_f32 v[98:99], v[132:133], v[98:99]                // 00000000C680: D3B14062 1802C584
	v_pk_mul_f32 v[100:101], v[134:135], v[100:101]            // 00000000C688: D3B14064 1802C986
	v_pk_mul_f32 v[102:103], v[134:135], v[102:103]            // 00000000C690: D3B14066 1802CD86
	v_pk_mul_f32 v[104:105], v[134:135], v[104:105]            // 00000000C698: D3B14068 1802D186
	v_pk_mul_f32 v[106:107], v[134:135], v[106:107]            // 00000000C6A0: D3B1406A 1802D586
	s_waitcnt lgkmcnt(0)                                       // 00000000C6A8: BF8CC07F
	v_max3_f32 v150, v154, v156, v150                          // 00000000C6AC: D1D30096 065B399A
	v_max3_f32 v151, v155, v157, v151                          // 00000000C6B4: D1D30097 065F3B9B
	v_max3_f32 v150, v158, v160, v150                          // 00000000C6BC: D1D30096 065B419E
	v_max3_f32 v151, v159, v161, v151                          // 00000000C6C4: D1D30097 065F439F
	v_max3_f32 v150, v162, v164, v150                          // 00000000C6CC: D1D30096 065B49A2
	v_max3_f32 v151, v163, v165, v151                          // 00000000C6D4: D1D30097 065F4BA3
	v_max3_f32 v150, v166, v168, v150                          // 00000000C6DC: D1D30096 065B51A6
	v_max3_f32 v151, v167, v169, v151                          // 00000000C6E4: D1D30097 065F53A7
	v_max3_f32 v150, v170, v172, v150                          // 00000000C6EC: D1D30096 065B59AA
	v_max3_f32 v151, v171, v173, v151                          // 00000000C6F4: D1D30097 065F5BAB
	v_max3_f32 v150, v174, v176, v150                          // 00000000C6FC: D1D30096 065B61AE
	v_max3_f32 v151, v175, v177, v151                          // 00000000C704: D1D30097 065F63AF
	v_max3_f32 v150, v178, v180, v150                          // 00000000C70C: D1D30096 065B69B2
	v_max3_f32 v151, v179, v181, v151                          // 00000000C714: D1D30097 065F6BB3
	v_max3_f32 v150, v182, v184, v150                          // 00000000C71C: D1D30096 065B71B6
	v_max3_f32 v151, v183, v185, v151                          // 00000000C724: D1D30097 065F73B7
	v_max_f32_e32 v140, v150, v138                             // 00000000C72C: 17191596
	v_mul_f32_e64 v186, -s46, v140                             // 00000000C730: D10500BA 2003182E
	v_mov_b32_e32 v187, v186                                   // 00000000C738: 7F7603BA
	v_pk_fma_f32 v[28:29], v[28:29], s[46:47], v[186:187]      // 00000000C73C: D3B0401C 1EE85D1C
	v_pk_fma_f32 v[30:31], v[30:31], s[46:47], v[186:187]      // 00000000C744: D3B0401E 1EE85D1E
	v_exp_f32_e32 v28, v28                                     // 00000000C74C: 7E38411C
	v_exp_f32_e32 v29, v29                                     // 00000000C750: 7E3A411D
	v_exp_f32_e32 v30, v30                                     // 00000000C754: 7E3C411E
	v_exp_f32_e32 v31, v31                                     // 00000000C758: 7E3E411F
	v_pk_fma_f32 v[32:33], v[32:33], s[46:47], v[186:187]      // 00000000C75C: D3B04020 1EE85D20
	v_pk_fma_f32 v[34:35], v[34:35], s[46:47], v[186:187]      // 00000000C764: D3B04022 1EE85D22
	v_exp_f32_e32 v32, v32                                     // 00000000C76C: 7E404120
	v_exp_f32_e32 v33, v33                                     // 00000000C770: 7E424121
	v_exp_f32_e32 v34, v34                                     // 00000000C774: 7E444122
	v_exp_f32_e32 v35, v35                                     // 00000000C778: 7E464123
	v_pk_fma_f32 v[36:37], v[36:37], s[46:47], v[186:187]      // 00000000C77C: D3B04024 1EE85D24
	v_pk_fma_f32 v[38:39], v[38:39], s[46:47], v[186:187]      // 00000000C784: D3B04026 1EE85D26
	v_exp_f32_e32 v36, v36                                     // 00000000C78C: 7E484124
	v_exp_f32_e32 v37, v37                                     // 00000000C790: 7E4A4125
	v_exp_f32_e32 v38, v38                                     // 00000000C794: 7E4C4126
	v_exp_f32_e32 v39, v39                                     // 00000000C798: 7E4E4127
	v_pk_fma_f32 v[40:41], v[40:41], s[46:47], v[186:187]      // 00000000C79C: D3B04028 1EE85D28
	v_pk_fma_f32 v[42:43], v[42:43], s[46:47], v[186:187]      // 00000000C7A4: D3B0402A 1EE85D2A
	v_exp_f32_e32 v40, v40                                     // 00000000C7AC: 7E504128
	v_exp_f32_e32 v41, v41                                     // 00000000C7B0: 7E524129
	v_exp_f32_e32 v42, v42                                     // 00000000C7B4: 7E54412A
	v_exp_f32_e32 v43, v43                                     // 00000000C7B8: 7E56412B
	v_max_f32_e32 v141, v151, v139                             // 00000000C7BC: 171B1797
	v_mul_f32_e64 v186, -s46, v141                             // 00000000C7C0: D10500BA 20031A2E
	v_mov_b32_e32 v187, v186                                   // 00000000C7C8: 7F7603BA
	v_pk_fma_f32 v[44:45], v[44:45], s[46:47], v[186:187]      // 00000000C7CC: D3B0402C 1EE85D2C
	v_pk_fma_f32 v[46:47], v[46:47], s[46:47], v[186:187]      // 00000000C7D4: D3B0402E 1EE85D2E
	v_exp_f32_e32 v44, v44                                     // 00000000C7DC: 7E58412C
	v_exp_f32_e32 v45, v45                                     // 00000000C7E0: 7E5A412D
	v_exp_f32_e32 v46, v46                                     // 00000000C7E4: 7E5C412E
	v_exp_f32_e32 v47, v47                                     // 00000000C7E8: 7E5E412F
	v_pk_fma_f32 v[48:49], v[48:49], s[46:47], v[186:187]      // 00000000C7EC: D3B04030 1EE85D30
	v_pk_fma_f32 v[50:51], v[50:51], s[46:47], v[186:187]      // 00000000C7F4: D3B04032 1EE85D32
	v_exp_f32_e32 v48, v48                                     // 00000000C7FC: 7E604130
	v_exp_f32_e32 v49, v49                                     // 00000000C800: 7E624131
	v_exp_f32_e32 v50, v50                                     // 00000000C804: 7E644132
	v_exp_f32_e32 v51, v51                                     // 00000000C808: 7E664133
	v_pk_fma_f32 v[52:53], v[52:53], s[46:47], v[186:187]      // 00000000C80C: D3B04034 1EE85D34
	v_pk_fma_f32 v[54:55], v[54:55], s[46:47], v[186:187]      // 00000000C814: D3B04036 1EE85D36
	v_exp_f32_e32 v52, v52                                     // 00000000C81C: 7E684134
	v_exp_f32_e32 v53, v53                                     // 00000000C820: 7E6A4135
	v_exp_f32_e32 v54, v54                                     // 00000000C824: 7E6C4136
	v_exp_f32_e32 v55, v55                                     // 00000000C828: 7E6E4137
	v_pk_fma_f32 v[56:57], v[56:57], s[46:47], v[186:187]      // 00000000C82C: D3B04038 1EE85D38
	v_pk_fma_f32 v[58:59], v[58:59], s[46:47], v[186:187]      // 00000000C834: D3B0403A 1EE85D3A
	v_exp_f32_e32 v56, v56                                     // 00000000C83C: 7E704138
	v_exp_f32_e32 v57, v57                                     // 00000000C840: 7E724139
	v_exp_f32_e32 v58, v58                                     // 00000000C844: 7E74413A
	v_exp_f32_e32 v59, v59                                     // 00000000C848: 7E76413B
	v_mul_f32_dpp v60, v130, v28 row_newbcast:0 row_mask:0xf bank_mask:0xf// 00000000C84C: 0A7838FA FF015082
	v_mul_f32_dpp v61, v130, v29 row_newbcast:1 row_mask:0xf bank_mask:0xf// 00000000C854: 0A7A3AFA FF015182
	v_mul_f32_dpp v62, v130, v30 row_newbcast:2 row_mask:0xf bank_mask:0xf// 00000000C85C: 0A7C3CFA FF015282
	v_mul_f32_dpp v63, v130, v31 row_newbcast:3 row_mask:0xf bank_mask:0xf// 00000000C864: 0A7E3EFA FF015382
	v_mul_f32_dpp v64, v130, v32 row_newbcast:4 row_mask:0xf bank_mask:0xf// 00000000C86C: 0A8040FA FF015482
	v_mul_f32_dpp v65, v130, v33 row_newbcast:5 row_mask:0xf bank_mask:0xf// 00000000C874: 0A8242FA FF015582
	v_mul_f32_dpp v66, v130, v34 row_newbcast:6 row_mask:0xf bank_mask:0xf// 00000000C87C: 0A8444FA FF015682
	v_mul_f32_dpp v67, v130, v35 row_newbcast:7 row_mask:0xf bank_mask:0xf// 00000000C884: 0A8646FA FF015782
	v_mul_f32_dpp v68, v130, v36 row_newbcast:8 row_mask:0xf bank_mask:0xf// 00000000C88C: 0A8848FA FF015882
	v_mul_f32_dpp v69, v130, v37 row_newbcast:9 row_mask:0xf bank_mask:0xf// 00000000C894: 0A8A4AFA FF015982
	v_mul_f32_dpp v70, v130, v38 row_newbcast:10 row_mask:0xf bank_mask:0xf// 00000000C89C: 0A8C4CFA FF015A82
	v_mul_f32_dpp v71, v130, v39 row_newbcast:11 row_mask:0xf bank_mask:0xf// 00000000C8A4: 0A8E4EFA FF015B82
	v_mul_f32_dpp v72, v130, v40 row_newbcast:12 row_mask:0xf bank_mask:0xf// 00000000C8AC: 0A9050FA FF015C82
	v_mul_f32_dpp v73, v130, v41 row_newbcast:13 row_mask:0xf bank_mask:0xf// 00000000C8B4: 0A9252FA FF015D82
	v_mul_f32_dpp v74, v130, v42 row_newbcast:14 row_mask:0xf bank_mask:0xf// 00000000C8BC: 0A9454FA FF015E82
	v_mul_f32_dpp v75, v130, v43 row_newbcast:15 row_mask:0xf bank_mask:0xf// 00000000C8C4: 0A9656FA FF015F82
	v_mul_f32_dpp v76, v130, v44 row_newbcast:0 row_mask:0xf bank_mask:0xf// 00000000C8CC: 0A9858FA FF015082
	v_mul_f32_dpp v77, v130, v45 row_newbcast:1 row_mask:0xf bank_mask:0xf// 00000000C8D4: 0A9A5AFA FF015182
	v_mul_f32_dpp v78, v130, v46 row_newbcast:2 row_mask:0xf bank_mask:0xf// 00000000C8DC: 0A9C5CFA FF015282
	v_mul_f32_dpp v79, v130, v47 row_newbcast:3 row_mask:0xf bank_mask:0xf// 00000000C8E4: 0A9E5EFA FF015382
	v_mul_f32_dpp v80, v130, v48 row_newbcast:4 row_mask:0xf bank_mask:0xf// 00000000C8EC: 0AA060FA FF015482
	v_mul_f32_dpp v81, v130, v49 row_newbcast:5 row_mask:0xf bank_mask:0xf// 00000000C8F4: 0AA262FA FF015582
	v_mul_f32_dpp v82, v130, v50 row_newbcast:6 row_mask:0xf bank_mask:0xf// 00000000C8FC: 0AA464FA FF015682
	v_mul_f32_dpp v83, v130, v51 row_newbcast:7 row_mask:0xf bank_mask:0xf// 00000000C904: 0AA666FA FF015782
	v_mul_f32_dpp v84, v130, v52 row_newbcast:8 row_mask:0xf bank_mask:0xf// 00000000C90C: 0AA868FA FF015882
	v_mul_f32_dpp v85, v130, v53 row_newbcast:9 row_mask:0xf bank_mask:0xf// 00000000C914: 0AAA6AFA FF015982
	v_mul_f32_dpp v86, v130, v54 row_newbcast:10 row_mask:0xf bank_mask:0xf// 00000000C91C: 0AAC6CFA FF015A82
	v_mul_f32_dpp v87, v130, v55 row_newbcast:11 row_mask:0xf bank_mask:0xf// 00000000C924: 0AAE6EFA FF015B82
	v_mul_f32_dpp v88, v130, v56 row_newbcast:12 row_mask:0xf bank_mask:0xf// 00000000C92C: 0AB070FA FF015C82
	v_mul_f32_dpp v89, v130, v57 row_newbcast:13 row_mask:0xf bank_mask:0xf// 00000000C934: 0AB272FA FF015D82
	v_mul_f32_dpp v90, v130, v58 row_newbcast:14 row_mask:0xf bank_mask:0xf// 00000000C93C: 0AB474FA FF015E82
	v_mul_f32_dpp v91, v130, v59 row_newbcast:15 row_mask:0xf bank_mask:0xf// 00000000C944: 0AB676FA FF015F82
	v_add_u32_e32 v186, s64, v196                              // 00000000C94C: 69758840
	v_add_u32_e32 v187, 0, v186                                // 00000000C950: 69777480
	v_cmp_lt_u32_e32 vcc, v187, v194                           // 00000000C954: 7D9385BB
	v_cndmask_b32_e32 v60, 0, v60, vcc                         // 00000000C958: 00787880
	v_cmp_lt_u32_e32 vcc, v187, v195                           // 00000000C95C: 7D9387BB
	v_cndmask_b32_e32 v76, 0, v76, vcc                         // 00000000C960: 00989880
	v_add_u32_e32 v187, 1, v186                                // 00000000C964: 69777481
	v_cmp_lt_u32_e32 vcc, v187, v194                           // 00000000C968: 7D9385BB
	v_cndmask_b32_e32 v61, 0, v61, vcc                         // 00000000C96C: 007A7A80
	v_cmp_lt_u32_e32 vcc, v187, v195                           // 00000000C970: 7D9387BB
	v_cndmask_b32_e32 v77, 0, v77, vcc                         // 00000000C974: 009A9A80
	v_add_u32_e32 v187, 2, v186                                // 00000000C978: 69777482
	v_cmp_lt_u32_e32 vcc, v187, v194                           // 00000000C97C: 7D9385BB
	v_cndmask_b32_e32 v62, 0, v62, vcc                         // 00000000C980: 007C7C80
	v_cmp_lt_u32_e32 vcc, v187, v195                           // 00000000C984: 7D9387BB
	v_cndmask_b32_e32 v78, 0, v78, vcc                         // 00000000C988: 009C9C80
	v_add_u32_e32 v187, 3, v186                                // 00000000C98C: 69777483
	v_cmp_lt_u32_e32 vcc, v187, v194                           // 00000000C990: 7D9385BB
	v_cndmask_b32_e32 v63, 0, v63, vcc                         // 00000000C994: 007E7E80
	v_cmp_lt_u32_e32 vcc, v187, v195                           // 00000000C998: 7D9387BB
	v_cndmask_b32_e32 v79, 0, v79, vcc                         // 00000000C99C: 009E9E80
	v_add_u32_e32 v187, 64, v186                               // 00000000C9A0: 697774C0
	v_cmp_lt_u32_e32 vcc, v187, v194                           // 00000000C9A4: 7D9385BB
	v_cndmask_b32_e32 v64, 0, v64, vcc                         // 00000000C9A8: 00808080
	v_cmp_lt_u32_e32 vcc, v187, v195                           // 00000000C9AC: 7D9387BB
	v_cndmask_b32_e32 v80, 0, v80, vcc                         // 00000000C9B0: 00A0A080
	v_add_u32_e32 v187, 0x41, v186                             // 00000000C9B4: 697774FF 00000041
	v_cmp_lt_u32_e32 vcc, v187, v194                           // 00000000C9BC: 7D9385BB
	v_cndmask_b32_e32 v65, 0, v65, vcc                         // 00000000C9C0: 00828280
	v_cmp_lt_u32_e32 vcc, v187, v195                           // 00000000C9C4: 7D9387BB
	v_cndmask_b32_e32 v81, 0, v81, vcc                         // 00000000C9C8: 00A2A280
	v_add_u32_e32 v187, 0x42, v186                             // 00000000C9CC: 697774FF 00000042
	v_cmp_lt_u32_e32 vcc, v187, v194                           // 00000000C9D4: 7D9385BB
	v_cndmask_b32_e32 v66, 0, v66, vcc                         // 00000000C9D8: 00848480
	v_cmp_lt_u32_e32 vcc, v187, v195                           // 00000000C9DC: 7D9387BB
	v_cndmask_b32_e32 v82, 0, v82, vcc                         // 00000000C9E0: 00A4A480
	v_add_u32_e32 v187, 0x43, v186                             // 00000000C9E4: 697774FF 00000043
	v_cmp_lt_u32_e32 vcc, v187, v194                           // 00000000C9EC: 7D9385BB
	v_cndmask_b32_e32 v67, 0, v67, vcc                         // 00000000C9F0: 00868680
	v_cmp_lt_u32_e32 vcc, v187, v195                           // 00000000C9F4: 7D9387BB
	v_cndmask_b32_e32 v83, 0, v83, vcc                         // 00000000C9F8: 00A6A680
	v_add_u32_e32 v187, 0x80, v186                             // 00000000C9FC: 697774FF 00000080
	v_cmp_lt_u32_e32 vcc, v187, v194                           // 00000000CA04: 7D9385BB
	v_cndmask_b32_e32 v68, 0, v68, vcc                         // 00000000CA08: 00888880
	v_cmp_lt_u32_e32 vcc, v187, v195                           // 00000000CA0C: 7D9387BB
	v_cndmask_b32_e32 v84, 0, v84, vcc                         // 00000000CA10: 00A8A880
	v_add_u32_e32 v187, 0x81, v186                             // 00000000CA14: 697774FF 00000081
	v_cmp_lt_u32_e32 vcc, v187, v194                           // 00000000CA1C: 7D9385BB
	v_cndmask_b32_e32 v69, 0, v69, vcc                         // 00000000CA20: 008A8A80
	v_cmp_lt_u32_e32 vcc, v187, v195                           // 00000000CA24: 7D9387BB
	v_cndmask_b32_e32 v85, 0, v85, vcc                         // 00000000CA28: 00AAAA80
	v_add_u32_e32 v187, 0x82, v186                             // 00000000CA2C: 697774FF 00000082
	v_cmp_lt_u32_e32 vcc, v187, v194                           // 00000000CA34: 7D9385BB
	v_cndmask_b32_e32 v70, 0, v70, vcc                         // 00000000CA38: 008C8C80
	v_cmp_lt_u32_e32 vcc, v187, v195                           // 00000000CA3C: 7D9387BB
	v_cndmask_b32_e32 v86, 0, v86, vcc                         // 00000000CA40: 00ACAC80
	v_add_u32_e32 v187, 0x83, v186                             // 00000000CA44: 697774FF 00000083
	v_cmp_lt_u32_e32 vcc, v187, v194                           // 00000000CA4C: 7D9385BB
	v_cndmask_b32_e32 v71, 0, v71, vcc                         // 00000000CA50: 008E8E80
	v_cmp_lt_u32_e32 vcc, v187, v195                           // 00000000CA54: 7D9387BB
	v_cndmask_b32_e32 v87, 0, v87, vcc                         // 00000000CA58: 00AEAE80
	v_add_u32_e32 v187, 0xc0, v186                             // 00000000CA5C: 697774FF 000000C0
	v_cmp_lt_u32_e32 vcc, v187, v194                           // 00000000CA64: 7D9385BB
	v_cndmask_b32_e32 v72, 0, v72, vcc                         // 00000000CA68: 00909080
	v_cmp_lt_u32_e32 vcc, v187, v195                           // 00000000CA6C: 7D9387BB
	v_cndmask_b32_e32 v88, 0, v88, vcc                         // 00000000CA70: 00B0B080
	v_add_u32_e32 v187, 0xc1, v186                             // 00000000CA74: 697774FF 000000C1
	v_cmp_lt_u32_e32 vcc, v187, v194                           // 00000000CA7C: 7D9385BB
	v_cndmask_b32_e32 v73, 0, v73, vcc                         // 00000000CA80: 00929280
	v_cmp_lt_u32_e32 vcc, v187, v195                           // 00000000CA84: 7D9387BB
	v_cndmask_b32_e32 v89, 0, v89, vcc                         // 00000000CA88: 00B2B280
	v_add_u32_e32 v187, 0xc2, v186                             // 00000000CA8C: 697774FF 000000C2
	v_cmp_lt_u32_e32 vcc, v187, v194                           // 00000000CA94: 7D9385BB
	v_cndmask_b32_e32 v74, 0, v74, vcc                         // 00000000CA98: 00949480
	v_cmp_lt_u32_e32 vcc, v187, v195                           // 00000000CA9C: 7D9387BB
	v_cndmask_b32_e32 v90, 0, v90, vcc                         // 00000000CAA0: 00B4B480
	v_add_u32_e32 v187, 0xc3, v186                             // 00000000CAA4: 697774FF 000000C3
	v_cmp_lt_u32_e32 vcc, v187, v194                           // 00000000CAAC: 7D9385BB
	v_cndmask_b32_e32 v75, 0, v75, vcc                         // 00000000CAB0: 00969680
	v_cmp_lt_u32_e32 vcc, v187, v195                           // 00000000CAB4: 7D9387BB
	v_cndmask_b32_e32 v91, 0, v91, vcc                         // 00000000CAB8: 00B6B680
	buffer_load_dword v129, v208, s[20:23], 0 offen            // 00000000CABC: E0501000 800581D0
	v_sub_f32_e32 v142, v138, v140                             // 00000000CAC4: 051D198A
	v_cmp_eq_u32_e64 s[98:99], v197, v138                      // 00000000CAC8: D0CA0062 000315C5
	v_cndmask_b32_e64 v142, v142, 0, s[98:99]                  // 00000000CAD0: D100008E 0189018E
	v_mov_b32_e32 v138, v140                                   // 00000000CAD8: 7F14038C
	v_mul_f32_e32 v142, s46, v142                              // 00000000CADC: 0B1D1C2E
	v_exp_f32_e32 v142, v142                                   // 00000000CAE0: 7F1C418E
	v_sub_f32_e32 v144, v139, v141                             // 00000000CAE4: 05211B8B
	v_cmp_eq_u32_e64 s[98:99], v197, v139                      // 00000000CAE8: D0CA0062 000317C5
	v_cndmask_b32_e64 v144, v144, 0, s[98:99]                  // 00000000CAF0: D1000090 01890190
	v_mov_b32_e32 v139, v141                                   // 00000000CAF8: 7F16038D
	v_mul_f32_e32 v144, s46, v144                              // 00000000CAFC: 0B21202E
	v_exp_f32_e32 v144, v144                                   // 00000000CB00: 7F204190
	v_mov_b32_e32 v143, v142                                   // 00000000CB04: 7F1E038E
	v_mov_b32_e32 v145, v144                                   // 00000000CB08: 7F220390
	buffer_load_dword v131, v209, s[24:27], 0 offen            // 00000000CB0C: E0501000 800683D1
	s_waitcnt lgkmcnt(0)                                       // 00000000CB14: BF8CC07F
	s_barrier                                                  // 00000000CB18: BF8A0000
	v_mul_f32_e32 v146, v142, v146                             // 00000000CB1C: 0B25258E
	v_mov_b32_e32 v147, 0                                      // 00000000CB20: 7F260280
	v_pk_add_f32 v[146:147], v[28:29], v[146:147]              // 00000000CB24: D3B24092 1803251C
	v_pk_add_f32 v[146:147], v[30:31], v[146:147]              // 00000000CB2C: D3B24092 1803251E
	v_pk_add_f32 v[146:147], v[32:33], v[146:147]              // 00000000CB34: D3B24092 18032520
	v_pk_add_f32 v[146:147], v[34:35], v[146:147]              // 00000000CB3C: D3B24092 18032522
	v_pk_add_f32 v[146:147], v[36:37], v[146:147]              // 00000000CB44: D3B24092 18032524
	v_pk_add_f32 v[146:147], v[38:39], v[146:147]              // 00000000CB4C: D3B24092 18032526
	v_pk_add_f32 v[146:147], v[40:41], v[146:147]              // 00000000CB54: D3B24092 18032528
	v_pk_add_f32 v[146:147], v[42:43], v[146:147]              // 00000000CB5C: D3B24092 1803252A
	v_add_f32_e32 v146, v147, v146                             // 00000000CB64: 03252593
	v_mul_f32_e32 v148, v144, v148                             // 00000000CB68: 0B292990
	v_mov_b32_e32 v149, 0                                      // 00000000CB6C: 7F2A0280
	v_pk_add_f32 v[148:149], v[44:45], v[148:149]              // 00000000CB70: D3B24094 1803292C
	v_pk_add_f32 v[148:149], v[46:47], v[148:149]              // 00000000CB78: D3B24094 1803292E
	v_pk_add_f32 v[148:149], v[48:49], v[148:149]              // 00000000CB80: D3B24094 18032930
	v_pk_add_f32 v[148:149], v[50:51], v[148:149]              // 00000000CB88: D3B24094 18032932
	v_pk_add_f32 v[148:149], v[52:53], v[148:149]              // 00000000CB90: D3B24094 18032934
	v_pk_add_f32 v[148:149], v[54:55], v[148:149]              // 00000000CB98: D3B24094 18032936
	v_pk_add_f32 v[148:149], v[56:57], v[148:149]              // 00000000CBA0: D3B24094 18032938
	v_pk_add_f32 v[148:149], v[58:59], v[148:149]              // 00000000CBA8: D3B24094 1803293A
	v_add_f32_e32 v148, v149, v148                             // 00000000CBB0: 03292995
	s_waitcnt lgkmcnt(0)                                       // 00000000CBB4: BF8CC07F
	v_sub_f32_e32 v150, v150, v138                             // 00000000CBB8: 052D1596
	v_sub_f32_e32 v151, v151, v139                             // 00000000CBBC: 052F1797
	v_mul_f32_e32 v150, s46, v150                              // 00000000CBC0: 0B2D2C2E
	v_mul_f32_e32 v151, s46, v151                              // 00000000CBC4: 0B2F2E2E
	v_exp_f32_e32 v150, v150                                   // 00000000CBC8: 7F2C4196
	v_exp_f32_e32 v151, v151                                   // 00000000CBCC: 7F2E4197
	v_mul_f32_e32 v150, v130, v150                             // 00000000CBD0: 0B2D2D82
	v_mul_f32_e32 v151, v130, v151                             // 00000000CBD4: 0B2F2F82
	v_add_f32_e32 v150, 0x3089705f, v150                       // 00000000CBD8: 032D2CFF 3089705F
	v_add_f32_e32 v151, 0x3089705f, v151                       // 00000000CBE0: 032F2EFF 3089705F
	v_rcp_f32_e32 v150, v150                                   // 00000000CBE8: 7F2C4596
	v_rcp_f32_e32 v151, v151                                   // 00000000CBEC: 7F2E4597
	v_mul_f32_e32 v150, 0x43700000, v150                       // 00000000CBF0: 0B2D2CFF 43700000
	v_mul_f32_e32 v151, 0x43700000, v151                       // 00000000CBF8: 0B2F2EFF 43700000
	v_mov_b32_e32 v152, v151                                   // 00000000CC00: 7F300397
	v_mov_b32_e32 v153, v151                                   // 00000000CC04: 7F320397
	v_mov_b32_e32 v151, v150                                   // 00000000CC08: 7F2E0396
	v_pk_mul_f32 v[28:29], v[150:151], v[60:61]                // 00000000CC0C: D3B1401C 18027996
	v_pk_mul_f32 v[30:31], v[150:151], v[62:63]                // 00000000CC14: D3B1401E 18027D96
	v_pk_mul_f32 v[32:33], v[150:151], v[64:65]                // 00000000CC1C: D3B14020 18028196
	v_pk_mul_f32 v[34:35], v[150:151], v[66:67]                // 00000000CC24: D3B14022 18028596
	v_pk_mul_f32 v[36:37], v[150:151], v[68:69]                // 00000000CC2C: D3B14024 18028996
	v_pk_mul_f32 v[38:39], v[150:151], v[70:71]                // 00000000CC34: D3B14026 18028D96
	v_pk_mul_f32 v[40:41], v[150:151], v[72:73]                // 00000000CC3C: D3B14028 18029196
	v_pk_mul_f32 v[42:43], v[150:151], v[74:75]                // 00000000CC44: D3B1402A 18029596
	v_pk_mul_f32 v[44:45], v[152:153], v[76:77]                // 00000000CC4C: D3B1402C 18029998
	v_pk_mul_f32 v[46:47], v[152:153], v[78:79]                // 00000000CC54: D3B1402E 18029D98
	v_pk_mul_f32 v[48:49], v[152:153], v[80:81]                // 00000000CC5C: D3B14030 1802A198
	v_pk_mul_f32 v[50:51], v[152:153], v[82:83]                // 00000000CC64: D3B14032 1802A598
	v_pk_mul_f32 v[52:53], v[152:153], v[84:85]                // 00000000CC6C: D3B14034 1802A998
	v_pk_mul_f32 v[54:55], v[152:153], v[86:87]                // 00000000CC74: D3B14036 1802AD98
	v_pk_mul_f32 v[56:57], v[152:153], v[88:89]                // 00000000CC7C: D3B14038 1802B198
	v_pk_mul_f32 v[58:59], v[152:153], v[90:91]                // 00000000CC84: D3B1403A 1802B598
	v_cvt_pk_fp8_f32 v28, v28, v29                             // 00000000CC8C: D2A2001C 00023B1C
	v_cvt_pk_fp8_f32 v28, v30, v31 op_sel:[0,0,1]              // 00000000CC94: D2A2401C 00023F1E
	v_cvt_pk_fp8_f32 v29, v32, v33                             // 00000000CC9C: D2A2001D 00024320
	v_cvt_pk_fp8_f32 v29, v34, v35 op_sel:[0,0,1]              // 00000000CCA4: D2A2401D 00024722
	v_cvt_pk_fp8_f32 v30, v36, v37                             // 00000000CCAC: D2A2001E 00024B24
	v_cvt_pk_fp8_f32 v30, v38, v39 op_sel:[0,0,1]              // 00000000CCB4: D2A2401E 00024F26
	v_cvt_pk_fp8_f32 v31, v40, v41                             // 00000000CCBC: D2A2001F 00025328
	v_cvt_pk_fp8_f32 v31, v42, v43 op_sel:[0,0,1]              // 00000000CCC4: D2A2401F 0002572A
	v_cvt_pk_fp8_f32 v32, v44, v45                             // 00000000CCCC: D2A20020 00025B2C
	v_cvt_pk_fp8_f32 v32, v46, v47 op_sel:[0,0,1]              // 00000000CCD4: D2A24020 00025F2E
	v_cvt_pk_fp8_f32 v33, v48, v49                             // 00000000CCDC: D2A20021 00026330
	v_cvt_pk_fp8_f32 v33, v50, v51 op_sel:[0,0,1]              // 00000000CCE4: D2A24021 00026732
	v_cvt_pk_fp8_f32 v34, v52, v53                             // 00000000CCEC: D2A20022 00026B34
	v_cvt_pk_fp8_f32 v34, v54, v55 op_sel:[0,0,1]              // 00000000CCF4: D2A24022 00026F36
	v_cvt_pk_fp8_f32 v35, v56, v57                             // 00000000CCFC: D2A20023 00027338
	v_cvt_pk_fp8_f32 v35, v58, v59 op_sel:[0,0,1]              // 00000000CD04: D2A24023 0002773A
	ds_write_b32 v222, v28 offset:4608                         // 00000000CD0C: D81A1200 00001CDE
	ds_write_b32 v222, v29 offset:5632                         // 00000000CD14: D81A1600 00001DDE
	ds_write_b32 v222, v30 offset:6656                         // 00000000CD1C: D81A1A00 00001EDE
	ds_write_b32 v222, v31 offset:7680                         // 00000000CD24: D81A1E00 00001FDE
	ds_write_b32 v222, v32 offset:8704                         // 00000000CD2C: D81A2200 000020DE
	ds_write_b32 v222, v33 offset:9728                         // 00000000CD34: D81A2600 000021DE
	ds_write_b32 v222, v34 offset:10752                        // 00000000CD3C: D81A2A00 000022DE
	ds_write_b32 v222, v35 offset:11776                        // 00000000CD44: D81A2E00 000023DE
	v_rcp_f32_e32 v132, v150                                   // 00000000CD4C: 7F084596
	v_rcp_f32_e32 v134, v152                                   // 00000000CD50: 7F0C4598
	v_mov_b32_e32 v133, v132                                   // 00000000CD54: 7F0A0384
	v_mov_b32_e32 v135, v134                                   // 00000000CD58: 7F0E0386
	v_pk_add_f32 v[108:109], v[108:109], v[92:93]              // 00000000CD5C: D3B2406C 1802B96C
	v_pk_add_f32 v[110:111], v[110:111], v[94:95]              // 00000000CD64: D3B2406E 1802BD6E
	v_pk_add_f32 v[112:113], v[112:113], v[96:97]              // 00000000CD6C: D3B24070 1802C170
	v_pk_add_f32 v[114:115], v[114:115], v[98:99]              // 00000000CD74: D3B24072 1802C572
	v_pk_add_f32 v[116:117], v[116:117], v[100:101]            // 00000000CD7C: D3B24074 1802C974
	v_pk_add_f32 v[118:119], v[118:119], v[102:103]            // 00000000CD84: D3B24076 1802CD76
	v_pk_add_f32 v[120:121], v[120:121], v[104:105]            // 00000000CD8C: D3B24078 1802D178
	v_pk_add_f32 v[122:123], v[122:123], v[106:107]            // 00000000CD94: D3B2407A 1802D57A
	s_waitcnt lgkmcnt(0)                                       // 00000000CD9C: BF8CC07F
	s_barrier                                                  // 00000000CDA0: BF8A0000
	ds_read_b128 v[28:31], v223 offset:4608                    // 00000000CDA4: D9FE1200 1C0000DF
	ds_read_b128 v[32:35], v223 offset:5632                    // 00000000CDAC: D9FE1600 200000DF
	ds_read_b128 v[36:39], v223 offset:6656                    // 00000000CDB4: D9FE1A00 240000DF
	ds_read_b128 v[40:43], v223 offset:7680                    // 00000000CDBC: D9FE1E00 280000DF
	ds_read_b128 v[44:47], v223 offset:8704                    // 00000000CDC4: D9FE2200 2C0000DF
	ds_read_b128 v[48:51], v223 offset:9728                    // 00000000CDCC: D9FE2600 300000DF
	ds_read_b128 v[52:55], v223 offset:10752                   // 00000000CDD4: D9FE2A00 340000DF
	ds_read_b128 v[56:59], v223 offset:11776                   // 00000000CDDC: D9FE2E00 380000DF
	s_waitcnt vmcnt(10)                                        // 00000000CDE4: BF8C0F7A
	v_lshrrev_b32_e32 v136, 4, v0                              // 00000000CDE8: 21100084
	v_lshlrev_b32_e32 v136, 4, v136                            // 00000000CDEC: 25111084
	v_add_u32_e32 v186, s64, v136                              // 00000000CDF0: 69751040
	v_add_u32_e32 v186, 4, v186                                // 00000000CDF4: 69757484
	v_sub_i32 v186, v186, s62                                  // 00000000CDF8: D29D00BA 00007DBA
	s_mov_b32 s54, 0                                           // 00000000CE00: BEB60080
	v_add_i32 v187, s54, v186                                  // 00000000CE04: D29C00BB 00037436
	v_cmp_lt_i32_e64 vcc, v187, 4                              // 00000000CE0C: D0C1006A 000109BB
	v_min_u32_e32 v187, 4, v187                                // 00000000CE14: 1D777684
	v_lshlrev_b32_e32 v187, 3, v187                            // 00000000CE18: 25777683
	v_lshrrev_b32_e64 v188, v187, -1                           // 00000000CE1C: D11000BC 000183BB
	v_accvgpr_read_b32 v189, a64                               // 00000000CE24: D3D840BD 18000140
	v_cndmask_b32_e32 v189, 0, v189, vcc                       // 00000000CE2C: 017B7A80
	v_and_b32_e32 v189, v189, v188                             // 00000000CE30: 277B79BD
	v_accvgpr_write_b32 a64, v189                              // 00000000CE34: D3D94040 180001BD
	v_accvgpr_read_b32 v189, a80                               // 00000000CE3C: D3D840BD 18000150
	v_cndmask_b32_e32 v189, 0, v189, vcc                       // 00000000CE44: 017B7A80
	v_and_b32_e32 v189, v189, v188                             // 00000000CE48: 277B79BD
	v_accvgpr_write_b32 a80, v189                              // 00000000CE4C: D3D94050 180001BD
	s_mov_b32 s54, 4                                           // 00000000CE54: BEB60084
	v_add_i32 v187, s54, v186                                  // 00000000CE58: D29C00BB 00037436
	v_cmp_lt_i32_e64 vcc, v187, 4                              // 00000000CE60: D0C1006A 000109BB
	v_min_u32_e32 v187, 4, v187                                // 00000000CE68: 1D777684
	v_lshlrev_b32_e32 v187, 3, v187                            // 00000000CE6C: 25777683
	v_lshrrev_b32_e64 v188, v187, -1                           // 00000000CE70: D11000BC 000183BB
	v_accvgpr_read_b32 v189, a65                               // 00000000CE78: D3D840BD 18000141
	v_cndmask_b32_e32 v189, 0, v189, vcc                       // 00000000CE80: 017B7A80
	v_and_b32_e32 v189, v189, v188                             // 00000000CE84: 277B79BD
	v_accvgpr_write_b32 a65, v189                              // 00000000CE88: D3D94041 180001BD
	v_accvgpr_read_b32 v189, a81                               // 00000000CE90: D3D840BD 18000151
	v_cndmask_b32_e32 v189, 0, v189, vcc                       // 00000000CE98: 017B7A80
	v_and_b32_e32 v189, v189, v188                             // 00000000CE9C: 277B79BD
	v_accvgpr_write_b32 a81, v189                              // 00000000CEA0: D3D94051 180001BD
	s_mov_b32 s54, 8                                           // 00000000CEA8: BEB60088
	v_add_i32 v187, s54, v186                                  // 00000000CEAC: D29C00BB 00037436
	v_cmp_lt_i32_e64 vcc, v187, 4                              // 00000000CEB4: D0C1006A 000109BB
	v_min_u32_e32 v187, 4, v187                                // 00000000CEBC: 1D777684
	v_lshlrev_b32_e32 v187, 3, v187                            // 00000000CEC0: 25777683
	v_lshrrev_b32_e64 v188, v187, -1                           // 00000000CEC4: D11000BC 000183BB
	v_accvgpr_read_b32 v189, a66                               // 00000000CECC: D3D840BD 18000142
	v_cndmask_b32_e32 v189, 0, v189, vcc                       // 00000000CED4: 017B7A80
	v_and_b32_e32 v189, v189, v188                             // 00000000CED8: 277B79BD
	v_accvgpr_write_b32 a66, v189                              // 00000000CEDC: D3D94042 180001BD
	v_accvgpr_read_b32 v189, a82                               // 00000000CEE4: D3D840BD 18000152
	v_cndmask_b32_e32 v189, 0, v189, vcc                       // 00000000CEEC: 017B7A80
	v_and_b32_e32 v189, v189, v188                             // 00000000CEF0: 277B79BD
	v_accvgpr_write_b32 a82, v189                              // 00000000CEF4: D3D94052 180001BD
	s_mov_b32 s54, 12                                          // 00000000CEFC: BEB6008C
	v_add_i32 v187, s54, v186                                  // 00000000CF00: D29C00BB 00037436
	v_cmp_lt_i32_e64 vcc, v187, 4                              // 00000000CF08: D0C1006A 000109BB
	v_min_u32_e32 v187, 4, v187                                // 00000000CF10: 1D777684
	v_lshlrev_b32_e32 v187, 3, v187                            // 00000000CF14: 25777683
	v_lshrrev_b32_e64 v188, v187, -1                           // 00000000CF18: D11000BC 000183BB
	v_accvgpr_read_b32 v189, a67                               // 00000000CF20: D3D840BD 18000143
	v_cndmask_b32_e32 v189, 0, v189, vcc                       // 00000000CF28: 017B7A80
	v_and_b32_e32 v189, v189, v188                             // 00000000CF2C: 277B79BD
	v_accvgpr_write_b32 a67, v189                              // 00000000CF30: D3D94043 180001BD
	v_accvgpr_read_b32 v189, a83                               // 00000000CF38: D3D840BD 18000153
	v_cndmask_b32_e32 v189, 0, v189, vcc                       // 00000000CF40: 017B7A80
	v_and_b32_e32 v189, v189, v188                             // 00000000CF44: 277B79BD
	v_accvgpr_write_b32 a83, v189                              // 00000000CF48: D3D94053 180001BD
	s_mov_b32 s54, 64                                          // 00000000CF50: BEB600C0
	v_add_i32 v187, s54, v186                                  // 00000000CF54: D29C00BB 00037436
	v_cmp_lt_i32_e64 vcc, v187, 4                              // 00000000CF5C: D0C1006A 000109BB
	v_min_u32_e32 v187, 4, v187                                // 00000000CF64: 1D777684
	v_lshlrev_b32_e32 v187, 3, v187                            // 00000000CF68: 25777683
	v_lshrrev_b32_e64 v188, v187, -1                           // 00000000CF6C: D11000BC 000183BB
	v_accvgpr_read_b32 v189, a68                               // 00000000CF74: D3D840BD 18000144
	v_cndmask_b32_e32 v189, 0, v189, vcc                       // 00000000CF7C: 017B7A80
	v_and_b32_e32 v189, v189, v188                             // 00000000CF80: 277B79BD
	v_accvgpr_write_b32 a68, v189                              // 00000000CF84: D3D94044 180001BD
	v_accvgpr_read_b32 v189, a84                               // 00000000CF8C: D3D840BD 18000154
	v_cndmask_b32_e32 v189, 0, v189, vcc                       // 00000000CF94: 017B7A80
	v_and_b32_e32 v189, v189, v188                             // 00000000CF98: 277B79BD
	v_accvgpr_write_b32 a84, v189                              // 00000000CF9C: D3D94054 180001BD
	s_mov_b32 s54, 0x44                                        // 00000000CFA4: BEB600FF 00000044
	v_add_i32 v187, s54, v186                                  // 00000000CFAC: D29C00BB 00037436
	v_cmp_lt_i32_e64 vcc, v187, 4                              // 00000000CFB4: D0C1006A 000109BB
	v_min_u32_e32 v187, 4, v187                                // 00000000CFBC: 1D777684
	v_lshlrev_b32_e32 v187, 3, v187                            // 00000000CFC0: 25777683
	v_lshrrev_b32_e64 v188, v187, -1                           // 00000000CFC4: D11000BC 000183BB
	v_accvgpr_read_b32 v189, a69                               // 00000000CFCC: D3D840BD 18000145
	v_cndmask_b32_e32 v189, 0, v189, vcc                       // 00000000CFD4: 017B7A80
	v_and_b32_e32 v189, v189, v188                             // 00000000CFD8: 277B79BD
	v_accvgpr_write_b32 a69, v189                              // 00000000CFDC: D3D94045 180001BD
	v_accvgpr_read_b32 v189, a85                               // 00000000CFE4: D3D840BD 18000155
	v_cndmask_b32_e32 v189, 0, v189, vcc                       // 00000000CFEC: 017B7A80
	v_and_b32_e32 v189, v189, v188                             // 00000000CFF0: 277B79BD
	v_accvgpr_write_b32 a85, v189                              // 00000000CFF4: D3D94055 180001BD
	s_mov_b32 s54, 0x48                                        // 00000000CFFC: BEB600FF 00000048
	v_add_i32 v187, s54, v186                                  // 00000000D004: D29C00BB 00037436
	v_cmp_lt_i32_e64 vcc, v187, 4                              // 00000000D00C: D0C1006A 000109BB
	v_min_u32_e32 v187, 4, v187                                // 00000000D014: 1D777684
	v_lshlrev_b32_e32 v187, 3, v187                            // 00000000D018: 25777683
	v_lshrrev_b32_e64 v188, v187, -1                           // 00000000D01C: D11000BC 000183BB
	v_accvgpr_read_b32 v189, a70                               // 00000000D024: D3D840BD 18000146
	v_cndmask_b32_e32 v189, 0, v189, vcc                       // 00000000D02C: 017B7A80
	v_and_b32_e32 v189, v189, v188                             // 00000000D030: 277B79BD
	v_accvgpr_write_b32 a70, v189                              // 00000000D034: D3D94046 180001BD
	v_accvgpr_read_b32 v189, a86                               // 00000000D03C: D3D840BD 18000156
	v_cndmask_b32_e32 v189, 0, v189, vcc                       // 00000000D044: 017B7A80
	v_and_b32_e32 v189, v189, v188                             // 00000000D048: 277B79BD
	v_accvgpr_write_b32 a86, v189                              // 00000000D04C: D3D94056 180001BD
	s_mov_b32 s54, 0x4c                                        // 00000000D054: BEB600FF 0000004C
	v_add_i32 v187, s54, v186                                  // 00000000D05C: D29C00BB 00037436
	v_cmp_lt_i32_e64 vcc, v187, 4                              // 00000000D064: D0C1006A 000109BB
	v_min_u32_e32 v187, 4, v187                                // 00000000D06C: 1D777684
	v_lshlrev_b32_e32 v187, 3, v187                            // 00000000D070: 25777683
	v_lshrrev_b32_e64 v188, v187, -1                           // 00000000D074: D11000BC 000183BB
	v_accvgpr_read_b32 v189, a71                               // 00000000D07C: D3D840BD 18000147
	v_cndmask_b32_e32 v189, 0, v189, vcc                       // 00000000D084: 017B7A80
	v_and_b32_e32 v189, v189, v188                             // 00000000D088: 277B79BD
	v_accvgpr_write_b32 a71, v189                              // 00000000D08C: D3D94047 180001BD
	v_accvgpr_read_b32 v189, a87                               // 00000000D094: D3D840BD 18000157
	v_cndmask_b32_e32 v189, 0, v189, vcc                       // 00000000D09C: 017B7A80
	v_and_b32_e32 v189, v189, v188                             // 00000000D0A0: 277B79BD
	v_accvgpr_write_b32 a87, v189                              // 00000000D0A4: D3D94057 180001BD
	s_mov_b32 s54, 0x80                                        // 00000000D0AC: BEB600FF 00000080
	v_add_i32 v187, s54, v186                                  // 00000000D0B4: D29C00BB 00037436
	v_cmp_lt_i32_e64 vcc, v187, 4                              // 00000000D0BC: D0C1006A 000109BB
	v_min_u32_e32 v187, 4, v187                                // 00000000D0C4: 1D777684
	v_lshlrev_b32_e32 v187, 3, v187                            // 00000000D0C8: 25777683
	v_lshrrev_b32_e64 v188, v187, -1                           // 00000000D0CC: D11000BC 000183BB
	v_accvgpr_read_b32 v189, a72                               // 00000000D0D4: D3D840BD 18000148
	v_cndmask_b32_e32 v189, 0, v189, vcc                       // 00000000D0DC: 017B7A80
	v_and_b32_e32 v189, v189, v188                             // 00000000D0E0: 277B79BD
	v_accvgpr_write_b32 a72, v189                              // 00000000D0E4: D3D94048 180001BD
	v_accvgpr_read_b32 v189, a88                               // 00000000D0EC: D3D840BD 18000158
	v_cndmask_b32_e32 v189, 0, v189, vcc                       // 00000000D0F4: 017B7A80
	v_and_b32_e32 v189, v189, v188                             // 00000000D0F8: 277B79BD
	v_accvgpr_write_b32 a88, v189                              // 00000000D0FC: D3D94058 180001BD
	s_mov_b32 s54, 0x84                                        // 00000000D104: BEB600FF 00000084
	v_add_i32 v187, s54, v186                                  // 00000000D10C: D29C00BB 00037436
	v_cmp_lt_i32_e64 vcc, v187, 4                              // 00000000D114: D0C1006A 000109BB
	v_min_u32_e32 v187, 4, v187                                // 00000000D11C: 1D777684
	v_lshlrev_b32_e32 v187, 3, v187                            // 00000000D120: 25777683
	v_lshrrev_b32_e64 v188, v187, -1                           // 00000000D124: D11000BC 000183BB
	v_accvgpr_read_b32 v189, a73                               // 00000000D12C: D3D840BD 18000149
	v_cndmask_b32_e32 v189, 0, v189, vcc                       // 00000000D134: 017B7A80
	v_and_b32_e32 v189, v189, v188                             // 00000000D138: 277B79BD
	v_accvgpr_write_b32 a73, v189                              // 00000000D13C: D3D94049 180001BD
	v_accvgpr_read_b32 v189, a89                               // 00000000D144: D3D840BD 18000159
	v_cndmask_b32_e32 v189, 0, v189, vcc                       // 00000000D14C: 017B7A80
	v_and_b32_e32 v189, v189, v188                             // 00000000D150: 277B79BD
	v_accvgpr_write_b32 a89, v189                              // 00000000D154: D3D94059 180001BD
	s_mov_b32 s54, 0x88                                        // 00000000D15C: BEB600FF 00000088
	v_add_i32 v187, s54, v186                                  // 00000000D164: D29C00BB 00037436
	v_cmp_lt_i32_e64 vcc, v187, 4                              // 00000000D16C: D0C1006A 000109BB
	v_min_u32_e32 v187, 4, v187                                // 00000000D174: 1D777684
	v_lshlrev_b32_e32 v187, 3, v187                            // 00000000D178: 25777683
	v_lshrrev_b32_e64 v188, v187, -1                           // 00000000D17C: D11000BC 000183BB
	v_accvgpr_read_b32 v189, a74                               // 00000000D184: D3D840BD 1800014A
	v_cndmask_b32_e32 v189, 0, v189, vcc                       // 00000000D18C: 017B7A80
	v_and_b32_e32 v189, v189, v188                             // 00000000D190: 277B79BD
	v_accvgpr_write_b32 a74, v189                              // 00000000D194: D3D9404A 180001BD
	v_accvgpr_read_b32 v189, a90                               // 00000000D19C: D3D840BD 1800015A
	v_cndmask_b32_e32 v189, 0, v189, vcc                       // 00000000D1A4: 017B7A80
	v_and_b32_e32 v189, v189, v188                             // 00000000D1A8: 277B79BD
	v_accvgpr_write_b32 a90, v189                              // 00000000D1AC: D3D9405A 180001BD
	s_mov_b32 s54, 0x8c                                        // 00000000D1B4: BEB600FF 0000008C
	v_add_i32 v187, s54, v186                                  // 00000000D1BC: D29C00BB 00037436
	v_cmp_lt_i32_e64 vcc, v187, 4                              // 00000000D1C4: D0C1006A 000109BB
	v_min_u32_e32 v187, 4, v187                                // 00000000D1CC: 1D777684
	v_lshlrev_b32_e32 v187, 3, v187                            // 00000000D1D0: 25777683
	v_lshrrev_b32_e64 v188, v187, -1                           // 00000000D1D4: D11000BC 000183BB
	v_accvgpr_read_b32 v189, a75                               // 00000000D1DC: D3D840BD 1800014B
	v_cndmask_b32_e32 v189, 0, v189, vcc                       // 00000000D1E4: 017B7A80
	v_and_b32_e32 v189, v189, v188                             // 00000000D1E8: 277B79BD
	v_accvgpr_write_b32 a75, v189                              // 00000000D1EC: D3D9404B 180001BD
	v_accvgpr_read_b32 v189, a91                               // 00000000D1F4: D3D840BD 1800015B
	v_cndmask_b32_e32 v189, 0, v189, vcc                       // 00000000D1FC: 017B7A80
	v_and_b32_e32 v189, v189, v188                             // 00000000D200: 277B79BD
	v_accvgpr_write_b32 a91, v189                              // 00000000D204: D3D9405B 180001BD
	s_mov_b32 s54, 0xc0                                        // 00000000D20C: BEB600FF 000000C0
	v_add_i32 v187, s54, v186                                  // 00000000D214: D29C00BB 00037436
	v_cmp_lt_i32_e64 vcc, v187, 4                              // 00000000D21C: D0C1006A 000109BB
	v_min_u32_e32 v187, 4, v187                                // 00000000D224: 1D777684
	v_lshlrev_b32_e32 v187, 3, v187                            // 00000000D228: 25777683
	v_lshrrev_b32_e64 v188, v187, -1                           // 00000000D22C: D11000BC 000183BB
	v_accvgpr_read_b32 v189, a76                               // 00000000D234: D3D840BD 1800014C
	v_cndmask_b32_e32 v189, 0, v189, vcc                       // 00000000D23C: 017B7A80
	v_and_b32_e32 v189, v189, v188                             // 00000000D240: 277B79BD
	v_accvgpr_write_b32 a76, v189                              // 00000000D244: D3D9404C 180001BD
	v_accvgpr_read_b32 v189, a92                               // 00000000D24C: D3D840BD 1800015C
	v_cndmask_b32_e32 v189, 0, v189, vcc                       // 00000000D254: 017B7A80
	v_and_b32_e32 v189, v189, v188                             // 00000000D258: 277B79BD
	v_accvgpr_write_b32 a92, v189                              // 00000000D25C: D3D9405C 180001BD
	s_mov_b32 s54, 0xc4                                        // 00000000D264: BEB600FF 000000C4
	v_add_i32 v187, s54, v186                                  // 00000000D26C: D29C00BB 00037436
	v_cmp_lt_i32_e64 vcc, v187, 4                              // 00000000D274: D0C1006A 000109BB
	v_min_u32_e32 v187, 4, v187                                // 00000000D27C: 1D777684
	v_lshlrev_b32_e32 v187, 3, v187                            // 00000000D280: 25777683
	v_lshrrev_b32_e64 v188, v187, -1                           // 00000000D284: D11000BC 000183BB
	v_accvgpr_read_b32 v189, a77                               // 00000000D28C: D3D840BD 1800014D
	v_cndmask_b32_e32 v189, 0, v189, vcc                       // 00000000D294: 017B7A80
	v_and_b32_e32 v189, v189, v188                             // 00000000D298: 277B79BD
	v_accvgpr_write_b32 a77, v189                              // 00000000D29C: D3D9404D 180001BD
	v_accvgpr_read_b32 v189, a93                               // 00000000D2A4: D3D840BD 1800015D
	v_cndmask_b32_e32 v189, 0, v189, vcc                       // 00000000D2AC: 017B7A80
	v_and_b32_e32 v189, v189, v188                             // 00000000D2B0: 277B79BD
	v_accvgpr_write_b32 a93, v189                              // 00000000D2B4: D3D9405D 180001BD
	s_mov_b32 s54, 0xc8                                        // 00000000D2BC: BEB600FF 000000C8
	v_add_i32 v187, s54, v186                                  // 00000000D2C4: D29C00BB 00037436
	v_cmp_lt_i32_e64 vcc, v187, 4                              // 00000000D2CC: D0C1006A 000109BB
	v_min_u32_e32 v187, 4, v187                                // 00000000D2D4: 1D777684
	v_lshlrev_b32_e32 v187, 3, v187                            // 00000000D2D8: 25777683
	v_lshrrev_b32_e64 v188, v187, -1                           // 00000000D2DC: D11000BC 000183BB
	v_accvgpr_read_b32 v189, a78                               // 00000000D2E4: D3D840BD 1800014E
	v_cndmask_b32_e32 v189, 0, v189, vcc                       // 00000000D2EC: 017B7A80
	v_and_b32_e32 v189, v189, v188                             // 00000000D2F0: 277B79BD
	v_accvgpr_write_b32 a78, v189                              // 00000000D2F4: D3D9404E 180001BD
	v_accvgpr_read_b32 v189, a94                               // 00000000D2FC: D3D840BD 1800015E
	v_cndmask_b32_e32 v189, 0, v189, vcc                       // 00000000D304: 017B7A80
	v_and_b32_e32 v189, v189, v188                             // 00000000D308: 277B79BD
	v_accvgpr_write_b32 a94, v189                              // 00000000D30C: D3D9405E 180001BD
	s_mov_b32 s54, 0xcc                                        // 00000000D314: BEB600FF 000000CC
	v_add_i32 v187, s54, v186                                  // 00000000D31C: D29C00BB 00037436
	v_cmp_lt_i32_e64 vcc, v187, 4                              // 00000000D324: D0C1006A 000109BB
	v_min_u32_e32 v187, 4, v187                                // 00000000D32C: 1D777684
	v_lshlrev_b32_e32 v187, 3, v187                            // 00000000D330: 25777683
	v_lshrrev_b32_e64 v188, v187, -1                           // 00000000D334: D11000BC 000183BB
	v_accvgpr_read_b32 v189, a79                               // 00000000D33C: D3D840BD 1800014F
	v_cndmask_b32_e32 v189, 0, v189, vcc                       // 00000000D344: 017B7A80
	v_and_b32_e32 v189, v189, v188                             // 00000000D348: 277B79BD
	v_accvgpr_write_b32 a79, v189                              // 00000000D34C: D3D9404F 180001BD
	v_accvgpr_read_b32 v189, a95                               // 00000000D354: D3D840BD 1800015F
	v_cndmask_b32_e32 v189, 0, v189, vcc                       // 00000000D35C: 017B7A80
	v_and_b32_e32 v189, v189, v188                             // 00000000D360: 277B79BD
	v_accvgpr_write_b32 a95, v189                              // 00000000D364: D3D9405F 180001BD
	s_waitcnt lgkmcnt(7)                                       // 00000000D36C: BF8CC77F
	v_mfma_f32_16x16x32_fp8_fp8 v[92:95], a[64:65], v[28:29], 0// 00000000D370: D3F3005C 0A023940
	v_mfma_f32_16x16x32_fp8_fp8 v[96:99], a[80:81], v[28:29], 0// 00000000D378: D3F30060 0A023950
	v_mfma_f32_16x16x32_fp8_fp8 v[92:95], a[66:67], v[30:31], v[92:95]// 00000000D380: D3F3005C 0D723D42
	buffer_load_dwordx4 a[96:99], v204, s[16:19], 0 offen      // 00000000D388: E05C1000 808460CC
	v_mfma_f32_16x16x32_fp8_fp8 v[96:99], a[82:83], v[30:31], v[96:99]// 00000000D390: D3F30060 0D823D52
	s_waitcnt lgkmcnt(6)                                       // 00000000D398: BF8CC67F
	v_mfma_f32_16x16x32_fp8_fp8 v[92:95], a[68:69], v[32:33], v[92:95]// 00000000D39C: D3F3005C 0D724144
	v_mfma_f32_16x16x32_fp8_fp8 v[96:99], a[84:85], v[32:33], v[96:99]// 00000000D3A4: D3F30060 0D824154
	v_mfma_f32_16x16x32_fp8_fp8 v[92:95], a[70:71], v[34:35], v[92:95]// 00000000D3AC: D3F3005C 0D724546
	buffer_load_dwordx4 a[100:103], v205, s[16:19], 0 offen    // 00000000D3B4: E05C1000 808464CD
	v_mfma_f32_16x16x32_fp8_fp8 v[96:99], a[86:87], v[34:35], v[96:99]// 00000000D3BC: D3F30060 0D824556
	s_waitcnt lgkmcnt(5)                                       // 00000000D3C4: BF8CC57F
	v_mfma_f32_16x16x32_fp8_fp8 v[92:95], a[72:73], v[36:37], v[92:95]// 00000000D3C8: D3F3005C 0D724948
	v_mfma_f32_16x16x32_fp8_fp8 v[96:99], a[88:89], v[36:37], v[96:99]// 00000000D3D0: D3F30060 0D824958
	v_mfma_f32_16x16x32_fp8_fp8 v[92:95], a[74:75], v[38:39], v[92:95]// 00000000D3D8: D3F3005C 0D724D4A
	buffer_load_dwordx4 a[104:107], v206, s[16:19], 0 offen    // 00000000D3E0: E05C1000 808468CE
	v_mfma_f32_16x16x32_fp8_fp8 v[96:99], a[90:91], v[38:39], v[96:99]// 00000000D3E8: D3F30060 0D824D5A
	s_waitcnt lgkmcnt(4)                                       // 00000000D3F0: BF8CC47F
	v_mfma_f32_16x16x32_fp8_fp8 v[92:95], a[76:77], v[40:41], v[92:95]// 00000000D3F4: D3F3005C 0D72514C
	v_mfma_f32_16x16x32_fp8_fp8 v[96:99], a[92:93], v[40:41], v[96:99]// 00000000D3FC: D3F30060 0D82515C
	v_mfma_f32_16x16x32_fp8_fp8 v[92:95], a[78:79], v[42:43], v[92:95]// 00000000D404: D3F3005C 0D72554E
	buffer_load_dwordx4 a[108:111], v207, s[16:19], 0 offen    // 00000000D40C: E05C1000 80846CCF
	v_mfma_f32_16x16x32_fp8_fp8 v[96:99], a[94:95], v[42:43], v[96:99]// 00000000D414: D3F30060 0D82555E
	s_waitcnt lgkmcnt(3)                                       // 00000000D41C: BF8CC37F
	v_mfma_f32_16x16x32_fp8_fp8 v[100:103], a[64:65], v[44:45], 0// 00000000D420: D3F30064 0A025940
	v_mfma_f32_16x16x32_fp8_fp8 v[104:107], a[80:81], v[44:45], 0// 00000000D428: D3F30068 0A025950
	v_mfma_f32_16x16x32_fp8_fp8 v[100:103], a[66:67], v[46:47], v[100:103]// 00000000D430: D3F30064 0D925D42
	buffer_load_dwordx4 a[112:115], v204, s[16:19], 0 offen offset:1024// 00000000D438: E05C1400 808470CC
	v_mfma_f32_16x16x32_fp8_fp8 v[104:107], a[82:83], v[46:47], v[104:107]// 00000000D440: D3F30068 0DA25D52
	s_waitcnt lgkmcnt(2)                                       // 00000000D448: BF8CC27F
	v_mfma_f32_16x16x32_fp8_fp8 v[100:103], a[68:69], v[48:49], v[100:103]// 00000000D44C: D3F30064 0D926144
	v_mfma_f32_16x16x32_fp8_fp8 v[104:107], a[84:85], v[48:49], v[104:107]// 00000000D454: D3F30068 0DA26154
	v_mfma_f32_16x16x32_fp8_fp8 v[100:103], a[70:71], v[50:51], v[100:103]// 00000000D45C: D3F30064 0D926546
	buffer_load_dwordx4 a[116:119], v205, s[16:19], 0 offen offset:1024// 00000000D464: E05C1400 808474CD
	v_mfma_f32_16x16x32_fp8_fp8 v[104:107], a[86:87], v[50:51], v[104:107]// 00000000D46C: D3F30068 0DA26556
	s_waitcnt lgkmcnt(1)                                       // 00000000D474: BF8CC17F
	v_mfma_f32_16x16x32_fp8_fp8 v[100:103], a[72:73], v[52:53], v[100:103]// 00000000D478: D3F30064 0D926948
	v_mfma_f32_16x16x32_fp8_fp8 v[104:107], a[88:89], v[52:53], v[104:107]// 00000000D480: D3F30068 0DA26958
	v_mfma_f32_16x16x32_fp8_fp8 v[100:103], a[74:75], v[54:55], v[100:103]// 00000000D488: D3F30064 0D926D4A
	buffer_load_dwordx4 a[120:123], v206, s[16:19], 0 offen offset:1024// 00000000D490: E05C1400 808478CE
	v_mfma_f32_16x16x32_fp8_fp8 v[104:107], a[90:91], v[54:55], v[104:107]// 00000000D498: D3F30068 0DA26D5A
	s_waitcnt lgkmcnt(0)                                       // 00000000D4A0: BF8CC07F
	v_mfma_f32_16x16x32_fp8_fp8 v[100:103], a[76:77], v[56:57], v[100:103]// 00000000D4A4: D3F30064 0D92714C
	v_mfma_f32_16x16x32_fp8_fp8 v[104:107], a[92:93], v[56:57], v[104:107]// 00000000D4AC: D3F30068 0DA2715C
	v_mfma_f32_16x16x32_fp8_fp8 v[100:103], a[78:79], v[58:59], v[100:103]// 00000000D4B4: D3F30064 0D92754E
	buffer_load_dwordx4 a[124:127], v207, s[16:19], 0 offen offset:1024// 00000000D4BC: E05C1400 80847CCF
	v_mfma_f32_16x16x32_fp8_fp8 v[104:107], a[94:95], v[58:59], v[104:107]// 00000000D4C4: D3F30068 0DA2755E
	s_addk_i32 s64, 0x100                                      // 00000000D4CC: B7400100

000000000000d4d0 <label_2BB4>:
	s_cmp_lt_i32 s64, s62                                      // 00000000D4D0: BF043E40
	s_cbranch_scc0 label_313C                                  // 00000000D4D4: BF840586
	s_waitcnt vmcnt(10)                                        // 00000000D4D8: BF8C0F7A
	v_mfma_f32_16x16x32_fp8_fp8 v[28:31], a[32:33], v[12:13], 0// 00000000D4DC: D3F3001C 0A021920
	s_add_u32 s12, s86, s69                                    // 00000000D4E4: 800C4556
	s_addc_u32 s13, s87, 0                                     // 00000000D4E8: 820D8057
	v_mfma_f32_16x16x32_fp8_fp8 v[28:31], a[34:35], v[14:15], v[28:31]// 00000000D4EC: D3F3001C 0C721D22
	s_add_u32 s16, s88, s70                                    // 00000000D4F4: 80104658
	s_addc_u32 s17, s89, 0                                     // 00000000D4F8: 82118059
	v_mfma_f32_16x16x32_fp8_fp8 v[28:31], a[36:37], v[16:17], v[28:31]// 00000000D4FC: D3F3001C 0C722124
	buffer_load_dwordx4 a[0:3], v202, s[12:15], 0 offen        // 00000000D504: E05C1000 808300CA
	v_mfma_f32_16x16x32_fp8_fp8 v[28:31], a[38:39], v[18:19], v[28:31]// 00000000D50C: D3F3001C 0C722526
	s_add_u32 s20, s90, s71                                    // 00000000D514: 8014475A
	s_addc_u32 s21, s91, 0                                     // 00000000D518: 8215805B
	v_mfma_f32_16x16x32_fp8_fp8 v[32:35], a[40:41], v[12:13], 0// 00000000D51C: D3F30020 0A021928
	s_add_u32 s24, s92, s71                                    // 00000000D524: 8018475C
	s_addc_u32 s25, s93, 0                                     // 00000000D528: 8219805D
	v_mfma_f32_16x16x32_fp8_fp8 v[32:35], a[42:43], v[14:15], v[32:35]// 00000000D52C: D3F30020 0C821D2A
	s_add_u32 s69, s69, 0x1000                                 // 00000000D534: 8045FF45 00001000
	s_add_u32 s70, s70, 0x8000                                 // 00000000D53C: 8046FF46 00008000
	v_mfma_f32_16x16x32_fp8_fp8 v[32:35], a[44:45], v[16:17], v[32:35]// 00000000D544: D3F30020 0C82212C
	buffer_load_dwordx4 a[4:7], v203, s[12:15], 0 offen        // 00000000D54C: E05C1000 808304CB
	v_mfma_f32_16x16x32_fp8_fp8 v[32:35], a[46:47], v[18:19], v[32:35]// 00000000D554: D3F30020 0C82252E
	v_mfma_f32_16x16x32_fp8_fp8 v[36:39], a[48:49], v[12:13], 0// 00000000D55C: D3F30024 0A021930
	v_mfma_f32_16x16x32_fp8_fp8 v[36:39], a[50:51], v[14:15], v[36:39]// 00000000D564: D3F30024 0C921D32
	v_mfma_f32_16x16x32_fp8_fp8 v[36:39], a[52:53], v[16:17], v[36:39]// 00000000D56C: D3F30024 0C922134
	buffer_load_dwordx4 a[8:11], v202, s[12:15], 0 offen offset:1024// 00000000D574: E05C1400 808308CA
	v_mfma_f32_16x16x32_fp8_fp8 v[36:39], a[54:55], v[18:19], v[36:39]// 00000000D57C: D3F30024 0C922536
	v_mfma_f32_16x16x32_fp8_fp8 v[40:43], a[56:57], v[12:13], 0// 00000000D584: D3F30028 0A021938
	v_mfma_f32_16x16x32_fp8_fp8 v[40:43], a[58:59], v[14:15], v[40:43]// 00000000D58C: D3F30028 0CA21D3A
	v_mfma_f32_16x16x32_fp8_fp8 v[40:43], a[60:61], v[16:17], v[40:43]// 00000000D594: D3F30028 0CA2213C
	buffer_load_dwordx4 a[12:15], v203, s[12:15], 0 offen offset:1024// 00000000D59C: E05C1400 80830CCB
	v_mfma_f32_16x16x32_fp8_fp8 v[40:43], a[62:63], v[18:19], v[40:43]// 00000000D5A4: D3F30028 0CA2253E
	v_mfma_f32_16x16x32_fp8_fp8 v[44:47], a[32:33], v[20:21], 0// 00000000D5AC: D3F3002C 0A022920
	v_mfma_f32_16x16x32_fp8_fp8 v[44:47], a[34:35], v[22:23], v[44:47]// 00000000D5B4: D3F3002C 0CB22D22
	v_mfma_f32_16x16x32_fp8_fp8 v[44:47], a[36:37], v[24:25], v[44:47]// 00000000D5BC: D3F3002C 0CB23124
	buffer_load_dwordx4 a[16:19], v202, s[12:15], 0 offen offset:2048// 00000000D5C4: E05C1800 808310CA
	v_mfma_f32_16x16x32_fp8_fp8 v[44:47], a[38:39], v[26:27], v[44:47]// 00000000D5CC: D3F3002C 0CB23526
	v_mfma_f32_16x16x32_fp8_fp8 v[48:51], a[40:41], v[20:21], 0// 00000000D5D4: D3F30030 0A022928
	v_mfma_f32_16x16x32_fp8_fp8 v[48:51], a[42:43], v[22:23], v[48:51]// 00000000D5DC: D3F30030 0CC22D2A
	v_mfma_f32_16x16x32_fp8_fp8 v[48:51], a[44:45], v[24:25], v[48:51]// 00000000D5E4: D3F30030 0CC2312C
	buffer_load_dwordx4 a[20:23], v203, s[12:15], 0 offen offset:2048// 00000000D5EC: E05C1800 808314CB
	v_mfma_f32_16x16x32_fp8_fp8 v[48:51], a[46:47], v[26:27], v[48:51]// 00000000D5F4: D3F30030 0CC2352E
	v_mfma_f32_16x16x32_fp8_fp8 v[52:55], a[48:49], v[20:21], 0// 00000000D5FC: D3F30034 0A022930
	v_mfma_f32_16x16x32_fp8_fp8 v[52:55], a[50:51], v[22:23], v[52:55]// 00000000D604: D3F30034 0CD22D32
	v_mfma_f32_16x16x32_fp8_fp8 v[52:55], a[52:53], v[24:25], v[52:55]// 00000000D60C: D3F30034 0CD23134
	buffer_load_dwordx4 a[24:27], v202, s[12:15], 0 offen offset:3072// 00000000D614: E05C1C00 808318CA
	v_mfma_f32_16x16x32_fp8_fp8 v[52:55], a[54:55], v[26:27], v[52:55]// 00000000D61C: D3F30034 0CD23536
	v_mfma_f32_16x16x32_fp8_fp8 v[56:59], a[56:57], v[20:21], 0// 00000000D624: D3F30038 0A022938
	v_mfma_f32_16x16x32_fp8_fp8 v[56:59], a[58:59], v[22:23], v[56:59]// 00000000D62C: D3F30038 0CE22D3A
	v_mfma_f32_16x16x32_fp8_fp8 v[56:59], a[60:61], v[24:25], v[56:59]// 00000000D634: D3F30038 0CE2313C
	buffer_load_dwordx4 a[28:31], v203, s[12:15], 0 offen offset:3072// 00000000D63C: E05C1C00 80831CCB
	v_mfma_f32_16x16x32_fp8_fp8 v[56:59], a[62:63], v[26:27], v[56:59]// 00000000D644: D3F30038 0CE2353E
	s_waitcnt vmcnt(16)                                        // 00000000D64C: BF8C4F70
	v_pk_mul_f32 v[28:29], v[124:125], v[28:29]                // 00000000D650: D3B1401C 1802397C
	v_pk_mul_f32 v[30:31], v[124:125], v[30:31]                // 00000000D658: D3B1401E 18023D7C
	v_mul_f32_dpp v28, v129, v28 row_newbcast:0 row_mask:0xf bank_mask:0xf// 00000000D660: 0A3838FA FF015081
	v_mul_f32_dpp v29, v129, v29 row_newbcast:1 row_mask:0xf bank_mask:0xf// 00000000D668: 0A3A3AFA FF015181
	v_mul_f32_dpp v30, v129, v30 row_newbcast:2 row_mask:0xf bank_mask:0xf// 00000000D670: 0A3C3CFA FF015281
	v_mul_f32_dpp v31, v129, v31 row_newbcast:3 row_mask:0xf bank_mask:0xf// 00000000D678: 0A3E3EFA FF015381
	v_pk_mul_f32 v[32:33], v[124:125], v[32:33]                // 00000000D680: D3B14020 1802417C
	v_pk_mul_f32 v[34:35], v[124:125], v[34:35]                // 00000000D688: D3B14022 1802457C
	v_mul_f32_dpp v32, v129, v32 row_newbcast:4 row_mask:0xf bank_mask:0xf// 00000000D690: 0A4040FA FF015481
	v_mul_f32_dpp v33, v129, v33 row_newbcast:5 row_mask:0xf bank_mask:0xf// 00000000D698: 0A4242FA FF015581
	v_mul_f32_dpp v34, v129, v34 row_newbcast:6 row_mask:0xf bank_mask:0xf// 00000000D6A0: 0A4444FA FF015681
	v_mul_f32_dpp v35, v129, v35 row_newbcast:7 row_mask:0xf bank_mask:0xf// 00000000D6A8: 0A4646FA FF015781
	v_pk_mul_f32 v[36:37], v[124:125], v[36:37]                // 00000000D6B0: D3B14024 1802497C
	v_pk_mul_f32 v[38:39], v[124:125], v[38:39]                // 00000000D6B8: D3B14026 18024D7C
	v_mul_f32_dpp v36, v129, v36 row_newbcast:8 row_mask:0xf bank_mask:0xf// 00000000D6C0: 0A4848FA FF015881
	v_mul_f32_dpp v37, v129, v37 row_newbcast:9 row_mask:0xf bank_mask:0xf// 00000000D6C8: 0A4A4AFA FF015981
	v_mul_f32_dpp v38, v129, v38 row_newbcast:10 row_mask:0xf bank_mask:0xf// 00000000D6D0: 0A4C4CFA FF015A81
	v_mul_f32_dpp v39, v129, v39 row_newbcast:11 row_mask:0xf bank_mask:0xf// 00000000D6D8: 0A4E4EFA FF015B81
	v_pk_mul_f32 v[40:41], v[124:125], v[40:41]                // 00000000D6E0: D3B14028 1802517C
	v_pk_mul_f32 v[42:43], v[124:125], v[42:43]                // 00000000D6E8: D3B1402A 1802557C
	v_mul_f32_dpp v40, v129, v40 row_newbcast:12 row_mask:0xf bank_mask:0xf// 00000000D6F0: 0A5050FA FF015C81
	v_mul_f32_dpp v41, v129, v41 row_newbcast:13 row_mask:0xf bank_mask:0xf// 00000000D6F8: 0A5252FA FF015D81
	v_mul_f32_dpp v42, v129, v42 row_newbcast:14 row_mask:0xf bank_mask:0xf// 00000000D700: 0A5454FA FF015E81
	v_mul_f32_dpp v43, v129, v43 row_newbcast:15 row_mask:0xf bank_mask:0xf// 00000000D708: 0A5656FA FF015F81
	v_pk_mul_f32 v[44:45], v[126:127], v[44:45]                // 00000000D710: D3B1402C 1802597E
	v_pk_mul_f32 v[46:47], v[126:127], v[46:47]                // 00000000D718: D3B1402E 18025D7E
	v_mul_f32_dpp v44, v129, v44 row_newbcast:0 row_mask:0xf bank_mask:0xf// 00000000D720: 0A5858FA FF015081
	v_mul_f32_dpp v45, v129, v45 row_newbcast:1 row_mask:0xf bank_mask:0xf// 00000000D728: 0A5A5AFA FF015181
	v_mul_f32_dpp v46, v129, v46 row_newbcast:2 row_mask:0xf bank_mask:0xf// 00000000D730: 0A5C5CFA FF015281
	v_mul_f32_dpp v47, v129, v47 row_newbcast:3 row_mask:0xf bank_mask:0xf// 00000000D738: 0A5E5EFA FF015381
	v_pk_mul_f32 v[48:49], v[126:127], v[48:49]                // 00000000D740: D3B14030 1802617E
	v_pk_mul_f32 v[50:51], v[126:127], v[50:51]                // 00000000D748: D3B14032 1802657E
	v_mul_f32_dpp v48, v129, v48 row_newbcast:4 row_mask:0xf bank_mask:0xf// 00000000D750: 0A6060FA FF015481
	v_mul_f32_dpp v49, v129, v49 row_newbcast:5 row_mask:0xf bank_mask:0xf// 00000000D758: 0A6262FA FF015581
	v_mul_f32_dpp v50, v129, v50 row_newbcast:6 row_mask:0xf bank_mask:0xf// 00000000D760: 0A6464FA FF015681
	v_mul_f32_dpp v51, v129, v51 row_newbcast:7 row_mask:0xf bank_mask:0xf// 00000000D768: 0A6666FA FF015781
	v_pk_mul_f32 v[52:53], v[126:127], v[52:53]                // 00000000D770: D3B14034 1802697E
	v_pk_mul_f32 v[54:55], v[126:127], v[54:55]                // 00000000D778: D3B14036 18026D7E
	v_mul_f32_dpp v52, v129, v52 row_newbcast:8 row_mask:0xf bank_mask:0xf// 00000000D780: 0A6868FA FF015881
	v_mul_f32_dpp v53, v129, v53 row_newbcast:9 row_mask:0xf bank_mask:0xf// 00000000D788: 0A6A6AFA FF015981
	v_mul_f32_dpp v54, v129, v54 row_newbcast:10 row_mask:0xf bank_mask:0xf// 00000000D790: 0A6C6CFA FF015A81
	v_mul_f32_dpp v55, v129, v55 row_newbcast:11 row_mask:0xf bank_mask:0xf// 00000000D798: 0A6E6EFA FF015B81
	v_pk_mul_f32 v[56:57], v[126:127], v[56:57]                // 00000000D7A0: D3B14038 1802717E
	v_pk_mul_f32 v[58:59], v[126:127], v[58:59]                // 00000000D7A8: D3B1403A 1802757E
	v_mul_f32_dpp v56, v129, v56 row_newbcast:12 row_mask:0xf bank_mask:0xf// 00000000D7B0: 0A7070FA FF015C81
	v_mul_f32_dpp v57, v129, v57 row_newbcast:13 row_mask:0xf bank_mask:0xf// 00000000D7B8: 0A7272FA FF015D81
	v_mul_f32_dpp v58, v129, v58 row_newbcast:14 row_mask:0xf bank_mask:0xf// 00000000D7C0: 0A7474FA FF015E81
	v_mul_f32_dpp v59, v129, v59 row_newbcast:15 row_mask:0xf bank_mask:0xf// 00000000D7C8: 0A7676FA FF015F81
	v_add_u32_e32 v186, s64, v196                              // 00000000D7D0: 69758840
	v_add_u32_e32 v187, 0, v186                                // 00000000D7D4: 69777480
	v_cmp_lt_u32_e64 s[98:99], v187, v194                      // 00000000D7D8: D0C90062 000385BB
	s_nop 0                                                    // 00000000D7E0: BF800000
	v_cndmask_b32_e64 v28, v197, v28, s[98:99]                 // 00000000D7E4: D100001C 018A39C5
	v_add_u32_e32 v187, 1, v186                                // 00000000D7EC: 69777481
	v_cmp_lt_u32_e64 s[98:99], v187, v194                      // 00000000D7F0: D0C90062 000385BB
	s_nop 0                                                    // 00000000D7F8: BF800000
	v_cndmask_b32_e64 v29, v197, v29, s[98:99]                 // 00000000D7FC: D100001D 018A3BC5
	v_add_u32_e32 v187, 2, v186                                // 00000000D804: 69777482
	v_cmp_lt_u32_e64 s[98:99], v187, v194                      // 00000000D808: D0C90062 000385BB
	s_nop 0                                                    // 00000000D810: BF800000
	v_cndmask_b32_e64 v30, v197, v30, s[98:99]                 // 00000000D814: D100001E 018A3DC5
	v_add_u32_e32 v187, 3, v186                                // 00000000D81C: 69777483
	v_cmp_lt_u32_e64 s[98:99], v187, v194                      // 00000000D820: D0C90062 000385BB
	s_nop 0                                                    // 00000000D828: BF800000
	v_cndmask_b32_e64 v31, v197, v31, s[98:99]                 // 00000000D82C: D100001F 018A3FC5
	v_add_u32_e32 v187, 64, v186                               // 00000000D834: 697774C0
	v_cmp_lt_u32_e64 s[98:99], v187, v194                      // 00000000D838: D0C90062 000385BB
	s_nop 0                                                    // 00000000D840: BF800000
	v_cndmask_b32_e64 v32, v197, v32, s[98:99]                 // 00000000D844: D1000020 018A41C5
	v_add_u32_e32 v187, 0x41, v186                             // 00000000D84C: 697774FF 00000041
	v_cmp_lt_u32_e64 s[98:99], v187, v194                      // 00000000D854: D0C90062 000385BB
	s_nop 0                                                    // 00000000D85C: BF800000
	v_cndmask_b32_e64 v33, v197, v33, s[98:99]                 // 00000000D860: D1000021 018A43C5
	v_add_u32_e32 v187, 0x42, v186                             // 00000000D868: 697774FF 00000042
	v_cmp_lt_u32_e64 s[98:99], v187, v194                      // 00000000D870: D0C90062 000385BB
	s_nop 0                                                    // 00000000D878: BF800000
	v_cndmask_b32_e64 v34, v197, v34, s[98:99]                 // 00000000D87C: D1000022 018A45C5
	v_add_u32_e32 v187, 0x43, v186                             // 00000000D884: 697774FF 00000043
	v_cmp_lt_u32_e64 s[98:99], v187, v194                      // 00000000D88C: D0C90062 000385BB
	s_nop 0                                                    // 00000000D894: BF800000
	v_cndmask_b32_e64 v35, v197, v35, s[98:99]                 // 00000000D898: D1000023 018A47C5
	v_add_u32_e32 v187, 0x80, v186                             // 00000000D8A0: 697774FF 00000080
	v_cmp_lt_u32_e64 s[98:99], v187, v194                      // 00000000D8A8: D0C90062 000385BB
	s_nop 0                                                    // 00000000D8B0: BF800000
	v_cndmask_b32_e64 v36, v197, v36, s[98:99]                 // 00000000D8B4: D1000024 018A49C5
	v_add_u32_e32 v187, 0x81, v186                             // 00000000D8BC: 697774FF 00000081
	v_cmp_lt_u32_e64 s[98:99], v187, v194                      // 00000000D8C4: D0C90062 000385BB
	s_nop 0                                                    // 00000000D8CC: BF800000
	v_cndmask_b32_e64 v37, v197, v37, s[98:99]                 // 00000000D8D0: D1000025 018A4BC5
	v_add_u32_e32 v187, 0x82, v186                             // 00000000D8D8: 697774FF 00000082
	v_cmp_lt_u32_e64 s[98:99], v187, v194                      // 00000000D8E0: D0C90062 000385BB
	s_nop 0                                                    // 00000000D8E8: BF800000
	v_cndmask_b32_e64 v38, v197, v38, s[98:99]                 // 00000000D8EC: D1000026 018A4DC5
	v_add_u32_e32 v187, 0x83, v186                             // 00000000D8F4: 697774FF 00000083
	v_cmp_lt_u32_e64 s[98:99], v187, v194                      // 00000000D8FC: D0C90062 000385BB
	s_nop 0                                                    // 00000000D904: BF800000
	v_cndmask_b32_e64 v39, v197, v39, s[98:99]                 // 00000000D908: D1000027 018A4FC5
	v_add_u32_e32 v187, 0xc0, v186                             // 00000000D910: 697774FF 000000C0
	v_cmp_lt_u32_e64 s[98:99], v187, v194                      // 00000000D918: D0C90062 000385BB
	s_nop 0                                                    // 00000000D920: BF800000
	v_cndmask_b32_e64 v40, v197, v40, s[98:99]                 // 00000000D924: D1000028 018A51C5
	v_add_u32_e32 v187, 0xc1, v186                             // 00000000D92C: 697774FF 000000C1
	v_cmp_lt_u32_e64 s[98:99], v187, v194                      // 00000000D934: D0C90062 000385BB
	s_nop 0                                                    // 00000000D93C: BF800000
	v_cndmask_b32_e64 v41, v197, v41, s[98:99]                 // 00000000D940: D1000029 018A53C5
	v_add_u32_e32 v187, 0xc2, v186                             // 00000000D948: 697774FF 000000C2
	v_cmp_lt_u32_e64 s[98:99], v187, v194                      // 00000000D950: D0C90062 000385BB
	s_nop 0                                                    // 00000000D958: BF800000
	v_cndmask_b32_e64 v42, v197, v42, s[98:99]                 // 00000000D95C: D100002A 018A55C5
	v_add_u32_e32 v187, 0xc3, v186                             // 00000000D964: 697774FF 000000C3
	v_cmp_lt_u32_e64 s[98:99], v187, v194                      // 00000000D96C: D0C90062 000385BB
	s_nop 0                                                    // 00000000D974: BF800000
	v_cndmask_b32_e64 v43, v197, v43, s[98:99]                 // 00000000D978: D100002B 018A57C5
	v_add_u32_e32 v187, 0, v186                                // 00000000D980: 69777480
	v_cmp_lt_u32_e64 s[98:99], v187, v195                      // 00000000D984: D0C90062 000387BB
	s_nop 0                                                    // 00000000D98C: BF800000
	v_cndmask_b32_e64 v44, v197, v44, s[98:99]                 // 00000000D990: D100002C 018A59C5
	v_add_u32_e32 v187, 1, v186                                // 00000000D998: 69777481
	v_cmp_lt_u32_e64 s[98:99], v187, v195                      // 00000000D99C: D0C90062 000387BB
	s_nop 0                                                    // 00000000D9A4: BF800000
	v_cndmask_b32_e64 v45, v197, v45, s[98:99]                 // 00000000D9A8: D100002D 018A5BC5
	v_add_u32_e32 v187, 2, v186                                // 00000000D9B0: 69777482
	v_cmp_lt_u32_e64 s[98:99], v187, v195                      // 00000000D9B4: D0C90062 000387BB
	s_nop 0                                                    // 00000000D9BC: BF800000
	v_cndmask_b32_e64 v46, v197, v46, s[98:99]                 // 00000000D9C0: D100002E 018A5DC5
	v_add_u32_e32 v187, 3, v186                                // 00000000D9C8: 69777483
	v_cmp_lt_u32_e64 s[98:99], v187, v195                      // 00000000D9CC: D0C90062 000387BB
	s_nop 0                                                    // 00000000D9D4: BF800000
	v_cndmask_b32_e64 v47, v197, v47, s[98:99]                 // 00000000D9D8: D100002F 018A5FC5
	v_add_u32_e32 v187, 64, v186                               // 00000000D9E0: 697774C0
	v_cmp_lt_u32_e64 s[98:99], v187, v195                      // 00000000D9E4: D0C90062 000387BB
	s_nop 0                                                    // 00000000D9EC: BF800000
	v_cndmask_b32_e64 v48, v197, v48, s[98:99]                 // 00000000D9F0: D1000030 018A61C5
	v_add_u32_e32 v187, 0x41, v186                             // 00000000D9F8: 697774FF 00000041
	v_cmp_lt_u32_e64 s[98:99], v187, v195                      // 00000000DA00: D0C90062 000387BB
	s_nop 0                                                    // 00000000DA08: BF800000
	v_cndmask_b32_e64 v49, v197, v49, s[98:99]                 // 00000000DA0C: D1000031 018A63C5
	v_add_u32_e32 v187, 0x42, v186                             // 00000000DA14: 697774FF 00000042
	v_cmp_lt_u32_e64 s[98:99], v187, v195                      // 00000000DA1C: D0C90062 000387BB
	s_nop 0                                                    // 00000000DA24: BF800000
	v_cndmask_b32_e64 v50, v197, v50, s[98:99]                 // 00000000DA28: D1000032 018A65C5
	v_add_u32_e32 v187, 0x43, v186                             // 00000000DA30: 697774FF 00000043
	v_cmp_lt_u32_e64 s[98:99], v187, v195                      // 00000000DA38: D0C90062 000387BB
	s_nop 0                                                    // 00000000DA40: BF800000
	v_cndmask_b32_e64 v51, v197, v51, s[98:99]                 // 00000000DA44: D1000033 018A67C5
	v_add_u32_e32 v187, 0x80, v186                             // 00000000DA4C: 697774FF 00000080
	v_cmp_lt_u32_e64 s[98:99], v187, v195                      // 00000000DA54: D0C90062 000387BB
	s_nop 0                                                    // 00000000DA5C: BF800000
	v_cndmask_b32_e64 v52, v197, v52, s[98:99]                 // 00000000DA60: D1000034 018A69C5
	v_add_u32_e32 v187, 0x81, v186                             // 00000000DA68: 697774FF 00000081
	v_cmp_lt_u32_e64 s[98:99], v187, v195                      // 00000000DA70: D0C90062 000387BB
	s_nop 0                                                    // 00000000DA78: BF800000
	v_cndmask_b32_e64 v53, v197, v53, s[98:99]                 // 00000000DA7C: D1000035 018A6BC5
	v_add_u32_e32 v187, 0x82, v186                             // 00000000DA84: 697774FF 00000082
	v_cmp_lt_u32_e64 s[98:99], v187, v195                      // 00000000DA8C: D0C90062 000387BB
	s_nop 0                                                    // 00000000DA94: BF800000
	v_cndmask_b32_e64 v54, v197, v54, s[98:99]                 // 00000000DA98: D1000036 018A6DC5
	v_add_u32_e32 v187, 0x83, v186                             // 00000000DAA0: 697774FF 00000083
	v_cmp_lt_u32_e64 s[98:99], v187, v195                      // 00000000DAA8: D0C90062 000387BB
	s_nop 0                                                    // 00000000DAB0: BF800000
	v_cndmask_b32_e64 v55, v197, v55, s[98:99]                 // 00000000DAB4: D1000037 018A6FC5
	v_add_u32_e32 v187, 0xc0, v186                             // 00000000DABC: 697774FF 000000C0
	v_cmp_lt_u32_e64 s[98:99], v187, v195                      // 00000000DAC4: D0C90062 000387BB
	s_nop 0                                                    // 00000000DACC: BF800000
	v_cndmask_b32_e64 v56, v197, v56, s[98:99]                 // 00000000DAD0: D1000038 018A71C5
	v_add_u32_e32 v187, 0xc1, v186                             // 00000000DAD8: 697774FF 000000C1
	v_cmp_lt_u32_e64 s[98:99], v187, v195                      // 00000000DAE0: D0C90062 000387BB
	s_nop 0                                                    // 00000000DAE8: BF800000
	v_cndmask_b32_e64 v57, v197, v57, s[98:99]                 // 00000000DAEC: D1000039 018A73C5
	v_add_u32_e32 v187, 0xc2, v186                             // 00000000DAF4: 697774FF 000000C2
	v_cmp_lt_u32_e64 s[98:99], v187, v195                      // 00000000DAFC: D0C90062 000387BB
	s_nop 0                                                    // 00000000DB04: BF800000
	v_cndmask_b32_e64 v58, v197, v58, s[98:99]                 // 00000000DB08: D100003A 018A75C5
	v_add_u32_e32 v187, 0xc3, v186                             // 00000000DB10: 697774FF 000000C3
	v_cmp_lt_u32_e64 s[98:99], v187, v195                      // 00000000DB18: D0C90062 000387BB
	s_nop 0                                                    // 00000000DB20: BF800000
	v_cndmask_b32_e64 v59, v197, v59, s[98:99]                 // 00000000DB24: D100003B 018A77C5
	v_mov_b32_e32 v150, v28                                    // 00000000DB2C: 7F2C031C
	v_max3_f32 v150, v28, v29, v150                            // 00000000DB30: D1D30096 065A3B1C
	v_max3_f32 v150, v30, v31, v150                            // 00000000DB38: D1D30096 065A3F1E
	v_max3_f32 v150, v32, v33, v150                            // 00000000DB40: D1D30096 065A4320
	v_max3_f32 v150, v34, v35, v150                            // 00000000DB48: D1D30096 065A4722
	v_max3_f32 v150, v36, v37, v150                            // 00000000DB50: D1D30096 065A4B24
	v_max3_f32 v150, v38, v39, v150                            // 00000000DB58: D1D30096 065A4F26
	v_max3_f32 v150, v40, v41, v150                            // 00000000DB60: D1D30096 065A5328
	v_max3_f32 v150, v42, v43, v150                            // 00000000DB68: D1D30096 065A572A
	v_mov_b32_e32 v151, v44                                    // 00000000DB70: 7F2E032C
	v_max3_f32 v151, v44, v45, v151                            // 00000000DB74: D1D30097 065E5B2C
	v_max3_f32 v151, v46, v47, v151                            // 00000000DB7C: D1D30097 065E5F2E
	v_max3_f32 v151, v48, v49, v151                            // 00000000DB84: D1D30097 065E6330
	v_max3_f32 v151, v50, v51, v151                            // 00000000DB8C: D1D30097 065E6732
	v_max3_f32 v151, v52, v53, v151                            // 00000000DB94: D1D30097 065E6B34
	v_max3_f32 v151, v54, v55, v151                            // 00000000DB9C: D1D30097 065E6F36
	v_max3_f32 v151, v56, v57, v151                            // 00000000DBA4: D1D30097 065E7338
	v_max3_f32 v151, v58, v59, v151                            // 00000000DBAC: D1D30097 065E773A
	ds_write_b64 v220, v[150:151]                              // 00000000DBB4: D89A0000 000096DC
	v_pk_mul_f32 v[108:109], v[142:143], v[108:109]            // 00000000DBBC: D3B1406C 1802D98E
	v_pk_mul_f32 v[110:111], v[142:143], v[110:111]            // 00000000DBC4: D3B1406E 1802DD8E
	v_pk_mul_f32 v[112:113], v[142:143], v[112:113]            // 00000000DBCC: D3B14070 1802E18E
	v_pk_mul_f32 v[114:115], v[142:143], v[114:115]            // 00000000DBD4: D3B14072 1802E58E
	v_pk_mul_f32 v[116:117], v[144:145], v[116:117]            // 00000000DBDC: D3B14074 1802E990
	v_pk_mul_f32 v[118:119], v[144:145], v[118:119]            // 00000000DBE4: D3B14076 1802ED90
	v_pk_mul_f32 v[120:121], v[144:145], v[120:121]            // 00000000DBEC: D3B14078 1802F190
	v_pk_mul_f32 v[122:123], v[144:145], v[122:123]            // 00000000DBF4: D3B1407A 1802F590
	s_waitcnt lgkmcnt(0)                                       // 00000000DBFC: BF8CC07F
	s_barrier                                                  // 00000000DC00: BF8A0000
	ds_read_b64 v[154:155], v221                               // 00000000DC04: D8EC0000 9A0000DD
	ds_read_b64 v[156:157], v221 offset:128                    // 00000000DC0C: D8EC0080 9C0000DD
	ds_read_b64 v[158:159], v221 offset:256                    // 00000000DC14: D8EC0100 9E0000DD
	ds_read_b64 v[160:161], v221 offset:384                    // 00000000DC1C: D8EC0180 A00000DD
	ds_read_b64 v[162:163], v221 offset:512                    // 00000000DC24: D8EC0200 A20000DD
	ds_read_b64 v[164:165], v221 offset:640                    // 00000000DC2C: D8EC0280 A40000DD
	ds_read_b64 v[166:167], v221 offset:768                    // 00000000DC34: D8EC0300 A60000DD
	ds_read_b64 v[168:169], v221 offset:896                    // 00000000DC3C: D8EC0380 A80000DD
	ds_read_b64 v[170:171], v221 offset:1024                   // 00000000DC44: D8EC0400 AA0000DD
	ds_read_b64 v[172:173], v221 offset:1152                   // 00000000DC4C: D8EC0480 AC0000DD
	ds_read_b64 v[174:175], v221 offset:1280                   // 00000000DC54: D8EC0500 AE0000DD
	ds_read_b64 v[176:177], v221 offset:1408                   // 00000000DC5C: D8EC0580 B00000DD
	ds_read_b64 v[178:179], v221 offset:1536                   // 00000000DC64: D8EC0600 B20000DD
	ds_read_b64 v[180:181], v221 offset:1664                   // 00000000DC6C: D8EC0680 B40000DD
	ds_read_b64 v[182:183], v221 offset:1792                   // 00000000DC74: D8EC0700 B60000DD
	ds_read_b64 v[184:185], v221 offset:1920                   // 00000000DC7C: D8EC0780 B80000DD
	v_pk_mul_f32 v[92:93], v[132:133], v[92:93]                // 00000000DC84: D3B1405C 1802B984
	v_pk_mul_f32 v[94:95], v[132:133], v[94:95]                // 00000000DC8C: D3B1405E 1802BD84
	v_pk_mul_f32 v[96:97], v[132:133], v[96:97]                // 00000000DC94: D3B14060 1802C184
	v_pk_mul_f32 v[98:99], v[132:133], v[98:99]                // 00000000DC9C: D3B14062 1802C584
	v_pk_mul_f32 v[100:101], v[134:135], v[100:101]            // 00000000DCA4: D3B14064 1802C986
	v_pk_mul_f32 v[102:103], v[134:135], v[102:103]            // 00000000DCAC: D3B14066 1802CD86
	v_pk_mul_f32 v[104:105], v[134:135], v[104:105]            // 00000000DCB4: D3B14068 1802D186
	v_pk_mul_f32 v[106:107], v[134:135], v[106:107]            // 00000000DCBC: D3B1406A 1802D586
	s_waitcnt lgkmcnt(0)                                       // 00000000DCC4: BF8CC07F
	v_max3_f32 v150, v154, v156, v150                          // 00000000DCC8: D1D30096 065B399A
	v_max3_f32 v151, v155, v157, v151                          // 00000000DCD0: D1D30097 065F3B9B
	v_max3_f32 v150, v158, v160, v150                          // 00000000DCD8: D1D30096 065B419E
	v_max3_f32 v151, v159, v161, v151                          // 00000000DCE0: D1D30097 065F439F
	v_max3_f32 v150, v162, v164, v150                          // 00000000DCE8: D1D30096 065B49A2
	v_max3_f32 v151, v163, v165, v151                          // 00000000DCF0: D1D30097 065F4BA3
	v_max3_f32 v150, v166, v168, v150                          // 00000000DCF8: D1D30096 065B51A6
	v_max3_f32 v151, v167, v169, v151                          // 00000000DD00: D1D30097 065F53A7
	v_max3_f32 v150, v170, v172, v150                          // 00000000DD08: D1D30096 065B59AA
	v_max3_f32 v151, v171, v173, v151                          // 00000000DD10: D1D30097 065F5BAB
	v_max3_f32 v150, v174, v176, v150                          // 00000000DD18: D1D30096 065B61AE
	v_max3_f32 v151, v175, v177, v151                          // 00000000DD20: D1D30097 065F63AF
	v_max3_f32 v150, v178, v180, v150                          // 00000000DD28: D1D30096 065B69B2
	v_max3_f32 v151, v179, v181, v151                          // 00000000DD30: D1D30097 065F6BB3
	v_max3_f32 v150, v182, v184, v150                          // 00000000DD38: D1D30096 065B71B6
	v_max3_f32 v151, v183, v185, v151                          // 00000000DD40: D1D30097 065F73B7
	v_max_f32_e32 v140, v150, v138                             // 00000000DD48: 17191596
	v_mul_f32_e64 v186, -s46, v140                             // 00000000DD4C: D10500BA 2003182E
	v_mov_b32_e32 v187, v186                                   // 00000000DD54: 7F7603BA
	v_pk_fma_f32 v[28:29], v[28:29], s[46:47], v[186:187]      // 00000000DD58: D3B0401C 1EE85D1C
	v_pk_fma_f32 v[30:31], v[30:31], s[46:47], v[186:187]      // 00000000DD60: D3B0401E 1EE85D1E
	v_exp_f32_e32 v28, v28                                     // 00000000DD68: 7E38411C
	v_exp_f32_e32 v29, v29                                     // 00000000DD6C: 7E3A411D
	v_exp_f32_e32 v30, v30                                     // 00000000DD70: 7E3C411E
	v_exp_f32_e32 v31, v31                                     // 00000000DD74: 7E3E411F
	v_pk_fma_f32 v[32:33], v[32:33], s[46:47], v[186:187]      // 00000000DD78: D3B04020 1EE85D20
	v_pk_fma_f32 v[34:35], v[34:35], s[46:47], v[186:187]      // 00000000DD80: D3B04022 1EE85D22
	v_exp_f32_e32 v32, v32                                     // 00000000DD88: 7E404120
	v_exp_f32_e32 v33, v33                                     // 00000000DD8C: 7E424121
	v_exp_f32_e32 v34, v34                                     // 00000000DD90: 7E444122
	v_exp_f32_e32 v35, v35                                     // 00000000DD94: 7E464123
	v_pk_fma_f32 v[36:37], v[36:37], s[46:47], v[186:187]      // 00000000DD98: D3B04024 1EE85D24
	v_pk_fma_f32 v[38:39], v[38:39], s[46:47], v[186:187]      // 00000000DDA0: D3B04026 1EE85D26
	v_exp_f32_e32 v36, v36                                     // 00000000DDA8: 7E484124
	v_exp_f32_e32 v37, v37                                     // 00000000DDAC: 7E4A4125
	v_exp_f32_e32 v38, v38                                     // 00000000DDB0: 7E4C4126
	v_exp_f32_e32 v39, v39                                     // 00000000DDB4: 7E4E4127
	v_pk_fma_f32 v[40:41], v[40:41], s[46:47], v[186:187]      // 00000000DDB8: D3B04028 1EE85D28
	v_pk_fma_f32 v[42:43], v[42:43], s[46:47], v[186:187]      // 00000000DDC0: D3B0402A 1EE85D2A
	v_exp_f32_e32 v40, v40                                     // 00000000DDC8: 7E504128
	v_exp_f32_e32 v41, v41                                     // 00000000DDCC: 7E524129
	v_exp_f32_e32 v42, v42                                     // 00000000DDD0: 7E54412A
	v_exp_f32_e32 v43, v43                                     // 00000000DDD4: 7E56412B
	v_max_f32_e32 v141, v151, v139                             // 00000000DDD8: 171B1797
	v_mul_f32_e64 v186, -s46, v141                             // 00000000DDDC: D10500BA 20031A2E
	v_mov_b32_e32 v187, v186                                   // 00000000DDE4: 7F7603BA
	v_pk_fma_f32 v[44:45], v[44:45], s[46:47], v[186:187]      // 00000000DDE8: D3B0402C 1EE85D2C
	v_pk_fma_f32 v[46:47], v[46:47], s[46:47], v[186:187]      // 00000000DDF0: D3B0402E 1EE85D2E
	v_exp_f32_e32 v44, v44                                     // 00000000DDF8: 7E58412C
	v_exp_f32_e32 v45, v45                                     // 00000000DDFC: 7E5A412D
	v_exp_f32_e32 v46, v46                                     // 00000000DE00: 7E5C412E
	v_exp_f32_e32 v47, v47                                     // 00000000DE04: 7E5E412F
	v_pk_fma_f32 v[48:49], v[48:49], s[46:47], v[186:187]      // 00000000DE08: D3B04030 1EE85D30
	v_pk_fma_f32 v[50:51], v[50:51], s[46:47], v[186:187]      // 00000000DE10: D3B04032 1EE85D32
	v_exp_f32_e32 v48, v48                                     // 00000000DE18: 7E604130
	v_exp_f32_e32 v49, v49                                     // 00000000DE1C: 7E624131
	v_exp_f32_e32 v50, v50                                     // 00000000DE20: 7E644132
	v_exp_f32_e32 v51, v51                                     // 00000000DE24: 7E664133
	v_pk_fma_f32 v[52:53], v[52:53], s[46:47], v[186:187]      // 00000000DE28: D3B04034 1EE85D34
	v_pk_fma_f32 v[54:55], v[54:55], s[46:47], v[186:187]      // 00000000DE30: D3B04036 1EE85D36
	v_exp_f32_e32 v52, v52                                     // 00000000DE38: 7E684134
	v_exp_f32_e32 v53, v53                                     // 00000000DE3C: 7E6A4135
	v_exp_f32_e32 v54, v54                                     // 00000000DE40: 7E6C4136
	v_exp_f32_e32 v55, v55                                     // 00000000DE44: 7E6E4137
	v_pk_fma_f32 v[56:57], v[56:57], s[46:47], v[186:187]      // 00000000DE48: D3B04038 1EE85D38
	v_pk_fma_f32 v[58:59], v[58:59], s[46:47], v[186:187]      // 00000000DE50: D3B0403A 1EE85D3A
	v_exp_f32_e32 v56, v56                                     // 00000000DE58: 7E704138
	v_exp_f32_e32 v57, v57                                     // 00000000DE5C: 7E724139
	v_exp_f32_e32 v58, v58                                     // 00000000DE60: 7E74413A
	v_exp_f32_e32 v59, v59                                     // 00000000DE64: 7E76413B
	v_mul_f32_dpp v60, v131, v28 row_newbcast:0 row_mask:0xf bank_mask:0xf// 00000000DE68: 0A7838FA FF015083
	v_mul_f32_dpp v61, v131, v29 row_newbcast:1 row_mask:0xf bank_mask:0xf// 00000000DE70: 0A7A3AFA FF015183
	v_mul_f32_dpp v62, v131, v30 row_newbcast:2 row_mask:0xf bank_mask:0xf// 00000000DE78: 0A7C3CFA FF015283
	v_mul_f32_dpp v63, v131, v31 row_newbcast:3 row_mask:0xf bank_mask:0xf// 00000000DE80: 0A7E3EFA FF015383
	v_mul_f32_dpp v64, v131, v32 row_newbcast:4 row_mask:0xf bank_mask:0xf// 00000000DE88: 0A8040FA FF015483
	v_mul_f32_dpp v65, v131, v33 row_newbcast:5 row_mask:0xf bank_mask:0xf// 00000000DE90: 0A8242FA FF015583
	v_mul_f32_dpp v66, v131, v34 row_newbcast:6 row_mask:0xf bank_mask:0xf// 00000000DE98: 0A8444FA FF015683
	v_mul_f32_dpp v67, v131, v35 row_newbcast:7 row_mask:0xf bank_mask:0xf// 00000000DEA0: 0A8646FA FF015783
	v_mul_f32_dpp v68, v131, v36 row_newbcast:8 row_mask:0xf bank_mask:0xf// 00000000DEA8: 0A8848FA FF015883
	v_mul_f32_dpp v69, v131, v37 row_newbcast:9 row_mask:0xf bank_mask:0xf// 00000000DEB0: 0A8A4AFA FF015983
	v_mul_f32_dpp v70, v131, v38 row_newbcast:10 row_mask:0xf bank_mask:0xf// 00000000DEB8: 0A8C4CFA FF015A83
	v_mul_f32_dpp v71, v131, v39 row_newbcast:11 row_mask:0xf bank_mask:0xf// 00000000DEC0: 0A8E4EFA FF015B83
	v_mul_f32_dpp v72, v131, v40 row_newbcast:12 row_mask:0xf bank_mask:0xf// 00000000DEC8: 0A9050FA FF015C83
	v_mul_f32_dpp v73, v131, v41 row_newbcast:13 row_mask:0xf bank_mask:0xf// 00000000DED0: 0A9252FA FF015D83
	v_mul_f32_dpp v74, v131, v42 row_newbcast:14 row_mask:0xf bank_mask:0xf// 00000000DED8: 0A9454FA FF015E83
	v_mul_f32_dpp v75, v131, v43 row_newbcast:15 row_mask:0xf bank_mask:0xf// 00000000DEE0: 0A9656FA FF015F83
	v_mul_f32_dpp v76, v131, v44 row_newbcast:0 row_mask:0xf bank_mask:0xf// 00000000DEE8: 0A9858FA FF015083
	v_mul_f32_dpp v77, v131, v45 row_newbcast:1 row_mask:0xf bank_mask:0xf// 00000000DEF0: 0A9A5AFA FF015183
	v_mul_f32_dpp v78, v131, v46 row_newbcast:2 row_mask:0xf bank_mask:0xf// 00000000DEF8: 0A9C5CFA FF015283
	v_mul_f32_dpp v79, v131, v47 row_newbcast:3 row_mask:0xf bank_mask:0xf// 00000000DF00: 0A9E5EFA FF015383
	v_mul_f32_dpp v80, v131, v48 row_newbcast:4 row_mask:0xf bank_mask:0xf// 00000000DF08: 0AA060FA FF015483
	v_mul_f32_dpp v81, v131, v49 row_newbcast:5 row_mask:0xf bank_mask:0xf// 00000000DF10: 0AA262FA FF015583
	v_mul_f32_dpp v82, v131, v50 row_newbcast:6 row_mask:0xf bank_mask:0xf// 00000000DF18: 0AA464FA FF015683
	v_mul_f32_dpp v83, v131, v51 row_newbcast:7 row_mask:0xf bank_mask:0xf// 00000000DF20: 0AA666FA FF015783
	v_mul_f32_dpp v84, v131, v52 row_newbcast:8 row_mask:0xf bank_mask:0xf// 00000000DF28: 0AA868FA FF015883
	v_mul_f32_dpp v85, v131, v53 row_newbcast:9 row_mask:0xf bank_mask:0xf// 00000000DF30: 0AAA6AFA FF015983
	v_mul_f32_dpp v86, v131, v54 row_newbcast:10 row_mask:0xf bank_mask:0xf// 00000000DF38: 0AAC6CFA FF015A83
	v_mul_f32_dpp v87, v131, v55 row_newbcast:11 row_mask:0xf bank_mask:0xf// 00000000DF40: 0AAE6EFA FF015B83
	v_mul_f32_dpp v88, v131, v56 row_newbcast:12 row_mask:0xf bank_mask:0xf// 00000000DF48: 0AB070FA FF015C83
	v_mul_f32_dpp v89, v131, v57 row_newbcast:13 row_mask:0xf bank_mask:0xf// 00000000DF50: 0AB272FA FF015D83
	v_mul_f32_dpp v90, v131, v58 row_newbcast:14 row_mask:0xf bank_mask:0xf// 00000000DF58: 0AB474FA FF015E83
	v_mul_f32_dpp v91, v131, v59 row_newbcast:15 row_mask:0xf bank_mask:0xf// 00000000DF60: 0AB676FA FF015F83
	v_add_u32_e32 v186, s64, v196                              // 00000000DF68: 69758840
	v_add_u32_e32 v187, 0, v186                                // 00000000DF6C: 69777480
	v_cmp_lt_u32_e32 vcc, v187, v194                           // 00000000DF70: 7D9385BB
	v_cndmask_b32_e32 v60, 0, v60, vcc                         // 00000000DF74: 00787880
	v_cmp_lt_u32_e32 vcc, v187, v195                           // 00000000DF78: 7D9387BB
	v_cndmask_b32_e32 v76, 0, v76, vcc                         // 00000000DF7C: 00989880
	v_add_u32_e32 v187, 1, v186                                // 00000000DF80: 69777481
	v_cmp_lt_u32_e32 vcc, v187, v194                           // 00000000DF84: 7D9385BB
	v_cndmask_b32_e32 v61, 0, v61, vcc                         // 00000000DF88: 007A7A80
	v_cmp_lt_u32_e32 vcc, v187, v195                           // 00000000DF8C: 7D9387BB
	v_cndmask_b32_e32 v77, 0, v77, vcc                         // 00000000DF90: 009A9A80
	v_add_u32_e32 v187, 2, v186                                // 00000000DF94: 69777482
	v_cmp_lt_u32_e32 vcc, v187, v194                           // 00000000DF98: 7D9385BB
	v_cndmask_b32_e32 v62, 0, v62, vcc                         // 00000000DF9C: 007C7C80
	v_cmp_lt_u32_e32 vcc, v187, v195                           // 00000000DFA0: 7D9387BB
	v_cndmask_b32_e32 v78, 0, v78, vcc                         // 00000000DFA4: 009C9C80
	v_add_u32_e32 v187, 3, v186                                // 00000000DFA8: 69777483
	v_cmp_lt_u32_e32 vcc, v187, v194                           // 00000000DFAC: 7D9385BB
	v_cndmask_b32_e32 v63, 0, v63, vcc                         // 00000000DFB0: 007E7E80
	v_cmp_lt_u32_e32 vcc, v187, v195                           // 00000000DFB4: 7D9387BB
	v_cndmask_b32_e32 v79, 0, v79, vcc                         // 00000000DFB8: 009E9E80
	v_add_u32_e32 v187, 64, v186                               // 00000000DFBC: 697774C0
	v_cmp_lt_u32_e32 vcc, v187, v194                           // 00000000DFC0: 7D9385BB
	v_cndmask_b32_e32 v64, 0, v64, vcc                         // 00000000DFC4: 00808080
	v_cmp_lt_u32_e32 vcc, v187, v195                           // 00000000DFC8: 7D9387BB
	v_cndmask_b32_e32 v80, 0, v80, vcc                         // 00000000DFCC: 00A0A080
	v_add_u32_e32 v187, 0x41, v186                             // 00000000DFD0: 697774FF 00000041
	v_cmp_lt_u32_e32 vcc, v187, v194                           // 00000000DFD8: 7D9385BB
	v_cndmask_b32_e32 v65, 0, v65, vcc                         // 00000000DFDC: 00828280
	v_cmp_lt_u32_e32 vcc, v187, v195                           // 00000000DFE0: 7D9387BB
	v_cndmask_b32_e32 v81, 0, v81, vcc                         // 00000000DFE4: 00A2A280
	v_add_u32_e32 v187, 0x42, v186                             // 00000000DFE8: 697774FF 00000042
	v_cmp_lt_u32_e32 vcc, v187, v194                           // 00000000DFF0: 7D9385BB
	v_cndmask_b32_e32 v66, 0, v66, vcc                         // 00000000DFF4: 00848480
	v_cmp_lt_u32_e32 vcc, v187, v195                           // 00000000DFF8: 7D9387BB
	v_cndmask_b32_e32 v82, 0, v82, vcc                         // 00000000DFFC: 00A4A480
	v_add_u32_e32 v187, 0x43, v186                             // 00000000E000: 697774FF 00000043
	v_cmp_lt_u32_e32 vcc, v187, v194                           // 00000000E008: 7D9385BB
	v_cndmask_b32_e32 v67, 0, v67, vcc                         // 00000000E00C: 00868680
	v_cmp_lt_u32_e32 vcc, v187, v195                           // 00000000E010: 7D9387BB
	v_cndmask_b32_e32 v83, 0, v83, vcc                         // 00000000E014: 00A6A680
	v_add_u32_e32 v187, 0x80, v186                             // 00000000E018: 697774FF 00000080
	v_cmp_lt_u32_e32 vcc, v187, v194                           // 00000000E020: 7D9385BB
	v_cndmask_b32_e32 v68, 0, v68, vcc                         // 00000000E024: 00888880
	v_cmp_lt_u32_e32 vcc, v187, v195                           // 00000000E028: 7D9387BB
	v_cndmask_b32_e32 v84, 0, v84, vcc                         // 00000000E02C: 00A8A880
	v_add_u32_e32 v187, 0x81, v186                             // 00000000E030: 697774FF 00000081
	v_cmp_lt_u32_e32 vcc, v187, v194                           // 00000000E038: 7D9385BB
	v_cndmask_b32_e32 v69, 0, v69, vcc                         // 00000000E03C: 008A8A80
	v_cmp_lt_u32_e32 vcc, v187, v195                           // 00000000E040: 7D9387BB
	v_cndmask_b32_e32 v85, 0, v85, vcc                         // 00000000E044: 00AAAA80
	v_add_u32_e32 v187, 0x82, v186                             // 00000000E048: 697774FF 00000082
	v_cmp_lt_u32_e32 vcc, v187, v194                           // 00000000E050: 7D9385BB
	v_cndmask_b32_e32 v70, 0, v70, vcc                         // 00000000E054: 008C8C80
	v_cmp_lt_u32_e32 vcc, v187, v195                           // 00000000E058: 7D9387BB
	v_cndmask_b32_e32 v86, 0, v86, vcc                         // 00000000E05C: 00ACAC80
	v_add_u32_e32 v187, 0x83, v186                             // 00000000E060: 697774FF 00000083
	v_cmp_lt_u32_e32 vcc, v187, v194                           // 00000000E068: 7D9385BB
	v_cndmask_b32_e32 v71, 0, v71, vcc                         // 00000000E06C: 008E8E80
	v_cmp_lt_u32_e32 vcc, v187, v195                           // 00000000E070: 7D9387BB
	v_cndmask_b32_e32 v87, 0, v87, vcc                         // 00000000E074: 00AEAE80
	v_add_u32_e32 v187, 0xc0, v186                             // 00000000E078: 697774FF 000000C0
	v_cmp_lt_u32_e32 vcc, v187, v194                           // 00000000E080: 7D9385BB
	v_cndmask_b32_e32 v72, 0, v72, vcc                         // 00000000E084: 00909080
	v_cmp_lt_u32_e32 vcc, v187, v195                           // 00000000E088: 7D9387BB
	v_cndmask_b32_e32 v88, 0, v88, vcc                         // 00000000E08C: 00B0B080
	v_add_u32_e32 v187, 0xc1, v186                             // 00000000E090: 697774FF 000000C1
	v_cmp_lt_u32_e32 vcc, v187, v194                           // 00000000E098: 7D9385BB
	v_cndmask_b32_e32 v73, 0, v73, vcc                         // 00000000E09C: 00929280
	v_cmp_lt_u32_e32 vcc, v187, v195                           // 00000000E0A0: 7D9387BB
	v_cndmask_b32_e32 v89, 0, v89, vcc                         // 00000000E0A4: 00B2B280
	v_add_u32_e32 v187, 0xc2, v186                             // 00000000E0A8: 697774FF 000000C2
	v_cmp_lt_u32_e32 vcc, v187, v194                           // 00000000E0B0: 7D9385BB
	v_cndmask_b32_e32 v74, 0, v74, vcc                         // 00000000E0B4: 00949480
	v_cmp_lt_u32_e32 vcc, v187, v195                           // 00000000E0B8: 7D9387BB
	v_cndmask_b32_e32 v90, 0, v90, vcc                         // 00000000E0BC: 00B4B480
	v_add_u32_e32 v187, 0xc3, v186                             // 00000000E0C0: 697774FF 000000C3
	v_cmp_lt_u32_e32 vcc, v187, v194                           // 00000000E0C8: 7D9385BB
	v_cndmask_b32_e32 v75, 0, v75, vcc                         // 00000000E0CC: 00969680
	v_cmp_lt_u32_e32 vcc, v187, v195                           // 00000000E0D0: 7D9387BB
	v_cndmask_b32_e32 v91, 0, v91, vcc                         // 00000000E0D4: 00B6B680
	buffer_load_dword v128, v208, s[20:23], 0 offen            // 00000000E0D8: E0501000 800580D0
	v_sub_f32_e32 v142, v138, v140                             // 00000000E0E0: 051D198A
	v_cmp_eq_u32_e64 s[98:99], v197, v138                      // 00000000E0E4: D0CA0062 000315C5
	v_cndmask_b32_e64 v142, v142, 0, s[98:99]                  // 00000000E0EC: D100008E 0189018E
	v_mov_b32_e32 v138, v140                                   // 00000000E0F4: 7F14038C
	v_mul_f32_e32 v142, s46, v142                              // 00000000E0F8: 0B1D1C2E
	v_exp_f32_e32 v142, v142                                   // 00000000E0FC: 7F1C418E
	v_sub_f32_e32 v144, v139, v141                             // 00000000E100: 05211B8B
	v_cmp_eq_u32_e64 s[98:99], v197, v139                      // 00000000E104: D0CA0062 000317C5
	v_cndmask_b32_e64 v144, v144, 0, s[98:99]                  // 00000000E10C: D1000090 01890190
	v_mov_b32_e32 v139, v141                                   // 00000000E114: 7F16038D
	v_mul_f32_e32 v144, s46, v144                              // 00000000E118: 0B21202E
	v_exp_f32_e32 v144, v144                                   // 00000000E11C: 7F204190
	v_mov_b32_e32 v143, v142                                   // 00000000E120: 7F1E038E
	v_mov_b32_e32 v145, v144                                   // 00000000E124: 7F220390
	buffer_load_dword v130, v209, s[24:27], 0 offen            // 00000000E128: E0501000 800682D1
	s_waitcnt lgkmcnt(0)                                       // 00000000E130: BF8CC07F
	s_barrier                                                  // 00000000E134: BF8A0000
	v_mul_f32_e32 v146, v142, v146                             // 00000000E138: 0B25258E
	v_mov_b32_e32 v147, 0                                      // 00000000E13C: 7F260280
	v_pk_add_f32 v[146:147], v[28:29], v[146:147]              // 00000000E140: D3B24092 1803251C
	v_pk_add_f32 v[146:147], v[30:31], v[146:147]              // 00000000E148: D3B24092 1803251E
	v_pk_add_f32 v[146:147], v[32:33], v[146:147]              // 00000000E150: D3B24092 18032520
	v_pk_add_f32 v[146:147], v[34:35], v[146:147]              // 00000000E158: D3B24092 18032522
	v_pk_add_f32 v[146:147], v[36:37], v[146:147]              // 00000000E160: D3B24092 18032524
	v_pk_add_f32 v[146:147], v[38:39], v[146:147]              // 00000000E168: D3B24092 18032526
	v_pk_add_f32 v[146:147], v[40:41], v[146:147]              // 00000000E170: D3B24092 18032528
	v_pk_add_f32 v[146:147], v[42:43], v[146:147]              // 00000000E178: D3B24092 1803252A
	v_add_f32_e32 v146, v147, v146                             // 00000000E180: 03252593
	v_mul_f32_e32 v148, v144, v148                             // 00000000E184: 0B292990
	v_mov_b32_e32 v149, 0                                      // 00000000E188: 7F2A0280
	v_pk_add_f32 v[148:149], v[44:45], v[148:149]              // 00000000E18C: D3B24094 1803292C
	v_pk_add_f32 v[148:149], v[46:47], v[148:149]              // 00000000E194: D3B24094 1803292E
	v_pk_add_f32 v[148:149], v[48:49], v[148:149]              // 00000000E19C: D3B24094 18032930
	v_pk_add_f32 v[148:149], v[50:51], v[148:149]              // 00000000E1A4: D3B24094 18032932
	v_pk_add_f32 v[148:149], v[52:53], v[148:149]              // 00000000E1AC: D3B24094 18032934
	v_pk_add_f32 v[148:149], v[54:55], v[148:149]              // 00000000E1B4: D3B24094 18032936
	v_pk_add_f32 v[148:149], v[56:57], v[148:149]              // 00000000E1BC: D3B24094 18032938
	v_pk_add_f32 v[148:149], v[58:59], v[148:149]              // 00000000E1C4: D3B24094 1803293A
	v_add_f32_e32 v148, v149, v148                             // 00000000E1CC: 03292995
	s_waitcnt lgkmcnt(0)                                       // 00000000E1D0: BF8CC07F
	v_sub_f32_e32 v150, v150, v138                             // 00000000E1D4: 052D1596
	v_sub_f32_e32 v151, v151, v139                             // 00000000E1D8: 052F1797
	v_mul_f32_e32 v150, s46, v150                              // 00000000E1DC: 0B2D2C2E
	v_mul_f32_e32 v151, s46, v151                              // 00000000E1E0: 0B2F2E2E
	v_exp_f32_e32 v150, v150                                   // 00000000E1E4: 7F2C4196
	v_exp_f32_e32 v151, v151                                   // 00000000E1E8: 7F2E4197
	v_mul_f32_e32 v150, v131, v150                             // 00000000E1EC: 0B2D2D83
	v_mul_f32_e32 v151, v131, v151                             // 00000000E1F0: 0B2F2F83
	v_add_f32_e32 v150, 0x3089705f, v150                       // 00000000E1F4: 032D2CFF 3089705F
	v_add_f32_e32 v151, 0x3089705f, v151                       // 00000000E1FC: 032F2EFF 3089705F
	v_rcp_f32_e32 v150, v150                                   // 00000000E204: 7F2C4596
	v_rcp_f32_e32 v151, v151                                   // 00000000E208: 7F2E4597
	v_mul_f32_e32 v150, 0x43700000, v150                       // 00000000E20C: 0B2D2CFF 43700000
	v_mul_f32_e32 v151, 0x43700000, v151                       // 00000000E214: 0B2F2EFF 43700000
	v_mov_b32_e32 v152, v151                                   // 00000000E21C: 7F300397
	v_mov_b32_e32 v153, v151                                   // 00000000E220: 7F320397
	v_mov_b32_e32 v151, v150                                   // 00000000E224: 7F2E0396
	v_pk_mul_f32 v[28:29], v[150:151], v[60:61]                // 00000000E228: D3B1401C 18027996
	v_pk_mul_f32 v[30:31], v[150:151], v[62:63]                // 00000000E230: D3B1401E 18027D96
	v_pk_mul_f32 v[32:33], v[150:151], v[64:65]                // 00000000E238: D3B14020 18028196
	v_pk_mul_f32 v[34:35], v[150:151], v[66:67]                // 00000000E240: D3B14022 18028596
	v_pk_mul_f32 v[36:37], v[150:151], v[68:69]                // 00000000E248: D3B14024 18028996
	v_pk_mul_f32 v[38:39], v[150:151], v[70:71]                // 00000000E250: D3B14026 18028D96
	v_pk_mul_f32 v[40:41], v[150:151], v[72:73]                // 00000000E258: D3B14028 18029196
	v_pk_mul_f32 v[42:43], v[150:151], v[74:75]                // 00000000E260: D3B1402A 18029596
	v_pk_mul_f32 v[44:45], v[152:153], v[76:77]                // 00000000E268: D3B1402C 18029998
	v_pk_mul_f32 v[46:47], v[152:153], v[78:79]                // 00000000E270: D3B1402E 18029D98
	v_pk_mul_f32 v[48:49], v[152:153], v[80:81]                // 00000000E278: D3B14030 1802A198
	v_pk_mul_f32 v[50:51], v[152:153], v[82:83]                // 00000000E280: D3B14032 1802A598
	v_pk_mul_f32 v[52:53], v[152:153], v[84:85]                // 00000000E288: D3B14034 1802A998
	v_pk_mul_f32 v[54:55], v[152:153], v[86:87]                // 00000000E290: D3B14036 1802AD98
	v_pk_mul_f32 v[56:57], v[152:153], v[88:89]                // 00000000E298: D3B14038 1802B198
	v_pk_mul_f32 v[58:59], v[152:153], v[90:91]                // 00000000E2A0: D3B1403A 1802B598
	v_cvt_pk_fp8_f32 v28, v28, v29                             // 00000000E2A8: D2A2001C 00023B1C
	v_cvt_pk_fp8_f32 v28, v30, v31 op_sel:[0,0,1]              // 00000000E2B0: D2A2401C 00023F1E
	v_cvt_pk_fp8_f32 v29, v32, v33                             // 00000000E2B8: D2A2001D 00024320
	v_cvt_pk_fp8_f32 v29, v34, v35 op_sel:[0,0,1]              // 00000000E2C0: D2A2401D 00024722
	v_cvt_pk_fp8_f32 v30, v36, v37                             // 00000000E2C8: D2A2001E 00024B24
	v_cvt_pk_fp8_f32 v30, v38, v39 op_sel:[0,0,1]              // 00000000E2D0: D2A2401E 00024F26
	v_cvt_pk_fp8_f32 v31, v40, v41                             // 00000000E2D8: D2A2001F 00025328
	v_cvt_pk_fp8_f32 v31, v42, v43 op_sel:[0,0,1]              // 00000000E2E0: D2A2401F 0002572A
	v_cvt_pk_fp8_f32 v32, v44, v45                             // 00000000E2E8: D2A20020 00025B2C
	v_cvt_pk_fp8_f32 v32, v46, v47 op_sel:[0,0,1]              // 00000000E2F0: D2A24020 00025F2E
	v_cvt_pk_fp8_f32 v33, v48, v49                             // 00000000E2F8: D2A20021 00026330
	v_cvt_pk_fp8_f32 v33, v50, v51 op_sel:[0,0,1]              // 00000000E300: D2A24021 00026732
	v_cvt_pk_fp8_f32 v34, v52, v53                             // 00000000E308: D2A20022 00026B34
	v_cvt_pk_fp8_f32 v34, v54, v55 op_sel:[0,0,1]              // 00000000E310: D2A24022 00026F36
	v_cvt_pk_fp8_f32 v35, v56, v57                             // 00000000E318: D2A20023 00027338
	v_cvt_pk_fp8_f32 v35, v58, v59 op_sel:[0,0,1]              // 00000000E320: D2A24023 0002773A
	ds_write_b32 v222, v28 offset:4608                         // 00000000E328: D81A1200 00001CDE
	ds_write_b32 v222, v29 offset:5632                         // 00000000E330: D81A1600 00001DDE
	ds_write_b32 v222, v30 offset:6656                         // 00000000E338: D81A1A00 00001EDE
	ds_write_b32 v222, v31 offset:7680                         // 00000000E340: D81A1E00 00001FDE
	ds_write_b32 v222, v32 offset:8704                         // 00000000E348: D81A2200 000020DE
	ds_write_b32 v222, v33 offset:9728                         // 00000000E350: D81A2600 000021DE
	ds_write_b32 v222, v34 offset:10752                        // 00000000E358: D81A2A00 000022DE
	ds_write_b32 v222, v35 offset:11776                        // 00000000E360: D81A2E00 000023DE
	v_rcp_f32_e32 v132, v150                                   // 00000000E368: 7F084596
	v_rcp_f32_e32 v134, v152                                   // 00000000E36C: 7F0C4598
	v_mov_b32_e32 v133, v132                                   // 00000000E370: 7F0A0384
	v_mov_b32_e32 v135, v134                                   // 00000000E374: 7F0E0386
	v_pk_add_f32 v[108:109], v[108:109], v[92:93]              // 00000000E378: D3B2406C 1802B96C
	v_pk_add_f32 v[110:111], v[110:111], v[94:95]              // 00000000E380: D3B2406E 1802BD6E
	v_pk_add_f32 v[112:113], v[112:113], v[96:97]              // 00000000E388: D3B24070 1802C170
	v_pk_add_f32 v[114:115], v[114:115], v[98:99]              // 00000000E390: D3B24072 1802C572
	v_pk_add_f32 v[116:117], v[116:117], v[100:101]            // 00000000E398: D3B24074 1802C974
	v_pk_add_f32 v[118:119], v[118:119], v[102:103]            // 00000000E3A0: D3B24076 1802CD76
	v_pk_add_f32 v[120:121], v[120:121], v[104:105]            // 00000000E3A8: D3B24078 1802D178
	v_pk_add_f32 v[122:123], v[122:123], v[106:107]            // 00000000E3B0: D3B2407A 1802D57A
	s_waitcnt lgkmcnt(0)                                       // 00000000E3B8: BF8CC07F
	s_barrier                                                  // 00000000E3BC: BF8A0000
	ds_read_b128 v[28:31], v223 offset:4608                    // 00000000E3C0: D9FE1200 1C0000DF
	ds_read_b128 v[32:35], v223 offset:5632                    // 00000000E3C8: D9FE1600 200000DF
	ds_read_b128 v[36:39], v223 offset:6656                    // 00000000E3D0: D9FE1A00 240000DF
	ds_read_b128 v[40:43], v223 offset:7680                    // 00000000E3D8: D9FE1E00 280000DF
	ds_read_b128 v[44:47], v223 offset:8704                    // 00000000E3E0: D9FE2200 2C0000DF
	ds_read_b128 v[48:51], v223 offset:9728                    // 00000000E3E8: D9FE2600 300000DF
	ds_read_b128 v[52:55], v223 offset:10752                   // 00000000E3F0: D9FE2A00 340000DF
	ds_read_b128 v[56:59], v223 offset:11776                   // 00000000E3F8: D9FE2E00 380000DF
	s_waitcnt vmcnt(10)                                        // 00000000E400: BF8C0F7A
	v_lshrrev_b32_e32 v136, 4, v0                              // 00000000E404: 21100084
	v_lshlrev_b32_e32 v136, 4, v136                            // 00000000E408: 25111084
	v_add_u32_e32 v186, s64, v136                              // 00000000E40C: 69751040
	v_add_u32_e32 v186, 4, v186                                // 00000000E410: 69757484
	v_sub_i32 v186, v186, s62                                  // 00000000E414: D29D00BA 00007DBA
	s_mov_b32 s54, 0                                           // 00000000E41C: BEB60080
	v_add_i32 v187, s54, v186                                  // 00000000E420: D29C00BB 00037436
	v_cmp_lt_i32_e64 vcc, v187, 4                              // 00000000E428: D0C1006A 000109BB
	v_min_u32_e32 v187, 4, v187                                // 00000000E430: 1D777684
	v_lshlrev_b32_e32 v187, 3, v187                            // 00000000E434: 25777683
	v_lshrrev_b32_e64 v188, v187, -1                           // 00000000E438: D11000BC 000183BB
	v_accvgpr_read_b32 v189, a96                               // 00000000E440: D3D840BD 18000160
	v_cndmask_b32_e32 v189, 0, v189, vcc                       // 00000000E448: 017B7A80
	v_and_b32_e32 v189, v189, v188                             // 00000000E44C: 277B79BD
	v_accvgpr_write_b32 a96, v189                              // 00000000E450: D3D94060 180001BD
	v_accvgpr_read_b32 v189, a112                              // 00000000E458: D3D840BD 18000170
	v_cndmask_b32_e32 v189, 0, v189, vcc                       // 00000000E460: 017B7A80
	v_and_b32_e32 v189, v189, v188                             // 00000000E464: 277B79BD
	v_accvgpr_write_b32 a112, v189                             // 00000000E468: D3D94070 180001BD
	s_mov_b32 s54, 4                                           // 00000000E470: BEB60084
	v_add_i32 v187, s54, v186                                  // 00000000E474: D29C00BB 00037436
	v_cmp_lt_i32_e64 vcc, v187, 4                              // 00000000E47C: D0C1006A 000109BB
	v_min_u32_e32 v187, 4, v187                                // 00000000E484: 1D777684
	v_lshlrev_b32_e32 v187, 3, v187                            // 00000000E488: 25777683
	v_lshrrev_b32_e64 v188, v187, -1                           // 00000000E48C: D11000BC 000183BB
	v_accvgpr_read_b32 v189, a97                               // 00000000E494: D3D840BD 18000161
	v_cndmask_b32_e32 v189, 0, v189, vcc                       // 00000000E49C: 017B7A80
	v_and_b32_e32 v189, v189, v188                             // 00000000E4A0: 277B79BD
	v_accvgpr_write_b32 a97, v189                              // 00000000E4A4: D3D94061 180001BD
	v_accvgpr_read_b32 v189, a113                              // 00000000E4AC: D3D840BD 18000171
	v_cndmask_b32_e32 v189, 0, v189, vcc                       // 00000000E4B4: 017B7A80
	v_and_b32_e32 v189, v189, v188                             // 00000000E4B8: 277B79BD
	v_accvgpr_write_b32 a113, v189                             // 00000000E4BC: D3D94071 180001BD
	s_mov_b32 s54, 8                                           // 00000000E4C4: BEB60088
	v_add_i32 v187, s54, v186                                  // 00000000E4C8: D29C00BB 00037436
	v_cmp_lt_i32_e64 vcc, v187, 4                              // 00000000E4D0: D0C1006A 000109BB
	v_min_u32_e32 v187, 4, v187                                // 00000000E4D8: 1D777684
	v_lshlrev_b32_e32 v187, 3, v187                            // 00000000E4DC: 25777683
	v_lshrrev_b32_e64 v188, v187, -1                           // 00000000E4E0: D11000BC 000183BB
	v_accvgpr_read_b32 v189, a98                               // 00000000E4E8: D3D840BD 18000162
	v_cndmask_b32_e32 v189, 0, v189, vcc                       // 00000000E4F0: 017B7A80
	v_and_b32_e32 v189, v189, v188                             // 00000000E4F4: 277B79BD
	v_accvgpr_write_b32 a98, v189                              // 00000000E4F8: D3D94062 180001BD
	v_accvgpr_read_b32 v189, a114                              // 00000000E500: D3D840BD 18000172
	v_cndmask_b32_e32 v189, 0, v189, vcc                       // 00000000E508: 017B7A80
	v_and_b32_e32 v189, v189, v188                             // 00000000E50C: 277B79BD
	v_accvgpr_write_b32 a114, v189                             // 00000000E510: D3D94072 180001BD
	s_mov_b32 s54, 12                                          // 00000000E518: BEB6008C
	v_add_i32 v187, s54, v186                                  // 00000000E51C: D29C00BB 00037436
	v_cmp_lt_i32_e64 vcc, v187, 4                              // 00000000E524: D0C1006A 000109BB
	v_min_u32_e32 v187, 4, v187                                // 00000000E52C: 1D777684
	v_lshlrev_b32_e32 v187, 3, v187                            // 00000000E530: 25777683
	v_lshrrev_b32_e64 v188, v187, -1                           // 00000000E534: D11000BC 000183BB
	v_accvgpr_read_b32 v189, a99                               // 00000000E53C: D3D840BD 18000163
	v_cndmask_b32_e32 v189, 0, v189, vcc                       // 00000000E544: 017B7A80
	v_and_b32_e32 v189, v189, v188                             // 00000000E548: 277B79BD
	v_accvgpr_write_b32 a99, v189                              // 00000000E54C: D3D94063 180001BD
	v_accvgpr_read_b32 v189, a115                              // 00000000E554: D3D840BD 18000173
	v_cndmask_b32_e32 v189, 0, v189, vcc                       // 00000000E55C: 017B7A80
	v_and_b32_e32 v189, v189, v188                             // 00000000E560: 277B79BD
	v_accvgpr_write_b32 a115, v189                             // 00000000E564: D3D94073 180001BD
	s_mov_b32 s54, 64                                          // 00000000E56C: BEB600C0
	v_add_i32 v187, s54, v186                                  // 00000000E570: D29C00BB 00037436
	v_cmp_lt_i32_e64 vcc, v187, 4                              // 00000000E578: D0C1006A 000109BB
	v_min_u32_e32 v187, 4, v187                                // 00000000E580: 1D777684
	v_lshlrev_b32_e32 v187, 3, v187                            // 00000000E584: 25777683
	v_lshrrev_b32_e64 v188, v187, -1                           // 00000000E588: D11000BC 000183BB
	v_accvgpr_read_b32 v189, a100                              // 00000000E590: D3D840BD 18000164
	v_cndmask_b32_e32 v189, 0, v189, vcc                       // 00000000E598: 017B7A80
	v_and_b32_e32 v189, v189, v188                             // 00000000E59C: 277B79BD
	v_accvgpr_write_b32 a100, v189                             // 00000000E5A0: D3D94064 180001BD
	v_accvgpr_read_b32 v189, a116                              // 00000000E5A8: D3D840BD 18000174
	v_cndmask_b32_e32 v189, 0, v189, vcc                       // 00000000E5B0: 017B7A80
	v_and_b32_e32 v189, v189, v188                             // 00000000E5B4: 277B79BD
	v_accvgpr_write_b32 a116, v189                             // 00000000E5B8: D3D94074 180001BD
	s_mov_b32 s54, 0x44                                        // 00000000E5C0: BEB600FF 00000044
	v_add_i32 v187, s54, v186                                  // 00000000E5C8: D29C00BB 00037436
	v_cmp_lt_i32_e64 vcc, v187, 4                              // 00000000E5D0: D0C1006A 000109BB
	v_min_u32_e32 v187, 4, v187                                // 00000000E5D8: 1D777684
	v_lshlrev_b32_e32 v187, 3, v187                            // 00000000E5DC: 25777683
	v_lshrrev_b32_e64 v188, v187, -1                           // 00000000E5E0: D11000BC 000183BB
	v_accvgpr_read_b32 v189, a101                              // 00000000E5E8: D3D840BD 18000165
	v_cndmask_b32_e32 v189, 0, v189, vcc                       // 00000000E5F0: 017B7A80
	v_and_b32_e32 v189, v189, v188                             // 00000000E5F4: 277B79BD
	v_accvgpr_write_b32 a101, v189                             // 00000000E5F8: D3D94065 180001BD
	v_accvgpr_read_b32 v189, a117                              // 00000000E600: D3D840BD 18000175
	v_cndmask_b32_e32 v189, 0, v189, vcc                       // 00000000E608: 017B7A80
	v_and_b32_e32 v189, v189, v188                             // 00000000E60C: 277B79BD
	v_accvgpr_write_b32 a117, v189                             // 00000000E610: D3D94075 180001BD
	s_mov_b32 s54, 0x48                                        // 00000000E618: BEB600FF 00000048
	v_add_i32 v187, s54, v186                                  // 00000000E620: D29C00BB 00037436
	v_cmp_lt_i32_e64 vcc, v187, 4                              // 00000000E628: D0C1006A 000109BB
	v_min_u32_e32 v187, 4, v187                                // 00000000E630: 1D777684
	v_lshlrev_b32_e32 v187, 3, v187                            // 00000000E634: 25777683
	v_lshrrev_b32_e64 v188, v187, -1                           // 00000000E638: D11000BC 000183BB
	v_accvgpr_read_b32 v189, a102                              // 00000000E640: D3D840BD 18000166
	v_cndmask_b32_e32 v189, 0, v189, vcc                       // 00000000E648: 017B7A80
	v_and_b32_e32 v189, v189, v188                             // 00000000E64C: 277B79BD
	v_accvgpr_write_b32 a102, v189                             // 00000000E650: D3D94066 180001BD
	v_accvgpr_read_b32 v189, a118                              // 00000000E658: D3D840BD 18000176
	v_cndmask_b32_e32 v189, 0, v189, vcc                       // 00000000E660: 017B7A80
	v_and_b32_e32 v189, v189, v188                             // 00000000E664: 277B79BD
	v_accvgpr_write_b32 a118, v189                             // 00000000E668: D3D94076 180001BD
	s_mov_b32 s54, 0x4c                                        // 00000000E670: BEB600FF 0000004C
	v_add_i32 v187, s54, v186                                  // 00000000E678: D29C00BB 00037436
	v_cmp_lt_i32_e64 vcc, v187, 4                              // 00000000E680: D0C1006A 000109BB
	v_min_u32_e32 v187, 4, v187                                // 00000000E688: 1D777684
	v_lshlrev_b32_e32 v187, 3, v187                            // 00000000E68C: 25777683
	v_lshrrev_b32_e64 v188, v187, -1                           // 00000000E690: D11000BC 000183BB
	v_accvgpr_read_b32 v189, a103                              // 00000000E698: D3D840BD 18000167
	v_cndmask_b32_e32 v189, 0, v189, vcc                       // 00000000E6A0: 017B7A80
	v_and_b32_e32 v189, v189, v188                             // 00000000E6A4: 277B79BD
	v_accvgpr_write_b32 a103, v189                             // 00000000E6A8: D3D94067 180001BD
	v_accvgpr_read_b32 v189, a119                              // 00000000E6B0: D3D840BD 18000177
	v_cndmask_b32_e32 v189, 0, v189, vcc                       // 00000000E6B8: 017B7A80
	v_and_b32_e32 v189, v189, v188                             // 00000000E6BC: 277B79BD
	v_accvgpr_write_b32 a119, v189                             // 00000000E6C0: D3D94077 180001BD
	s_mov_b32 s54, 0x80                                        // 00000000E6C8: BEB600FF 00000080
	v_add_i32 v187, s54, v186                                  // 00000000E6D0: D29C00BB 00037436
	v_cmp_lt_i32_e64 vcc, v187, 4                              // 00000000E6D8: D0C1006A 000109BB
	v_min_u32_e32 v187, 4, v187                                // 00000000E6E0: 1D777684
	v_lshlrev_b32_e32 v187, 3, v187                            // 00000000E6E4: 25777683
	v_lshrrev_b32_e64 v188, v187, -1                           // 00000000E6E8: D11000BC 000183BB
	v_accvgpr_read_b32 v189, a104                              // 00000000E6F0: D3D840BD 18000168
	v_cndmask_b32_e32 v189, 0, v189, vcc                       // 00000000E6F8: 017B7A80
	v_and_b32_e32 v189, v189, v188                             // 00000000E6FC: 277B79BD
	v_accvgpr_write_b32 a104, v189                             // 00000000E700: D3D94068 180001BD
	v_accvgpr_read_b32 v189, a120                              // 00000000E708: D3D840BD 18000178
	v_cndmask_b32_e32 v189, 0, v189, vcc                       // 00000000E710: 017B7A80
	v_and_b32_e32 v189, v189, v188                             // 00000000E714: 277B79BD
	v_accvgpr_write_b32 a120, v189                             // 00000000E718: D3D94078 180001BD
	s_mov_b32 s54, 0x84                                        // 00000000E720: BEB600FF 00000084
	v_add_i32 v187, s54, v186                                  // 00000000E728: D29C00BB 00037436
	v_cmp_lt_i32_e64 vcc, v187, 4                              // 00000000E730: D0C1006A 000109BB
	v_min_u32_e32 v187, 4, v187                                // 00000000E738: 1D777684
	v_lshlrev_b32_e32 v187, 3, v187                            // 00000000E73C: 25777683
	v_lshrrev_b32_e64 v188, v187, -1                           // 00000000E740: D11000BC 000183BB
	v_accvgpr_read_b32 v189, a105                              // 00000000E748: D3D840BD 18000169
	v_cndmask_b32_e32 v189, 0, v189, vcc                       // 00000000E750: 017B7A80
	v_and_b32_e32 v189, v189, v188                             // 00000000E754: 277B79BD
	v_accvgpr_write_b32 a105, v189                             // 00000000E758: D3D94069 180001BD
	v_accvgpr_read_b32 v189, a121                              // 00000000E760: D3D840BD 18000179
	v_cndmask_b32_e32 v189, 0, v189, vcc                       // 00000000E768: 017B7A80
	v_and_b32_e32 v189, v189, v188                             // 00000000E76C: 277B79BD
	v_accvgpr_write_b32 a121, v189                             // 00000000E770: D3D94079 180001BD
	s_mov_b32 s54, 0x88                                        // 00000000E778: BEB600FF 00000088
	v_add_i32 v187, s54, v186                                  // 00000000E780: D29C00BB 00037436
	v_cmp_lt_i32_e64 vcc, v187, 4                              // 00000000E788: D0C1006A 000109BB
	v_min_u32_e32 v187, 4, v187                                // 00000000E790: 1D777684
	v_lshlrev_b32_e32 v187, 3, v187                            // 00000000E794: 25777683
	v_lshrrev_b32_e64 v188, v187, -1                           // 00000000E798: D11000BC 000183BB
	v_accvgpr_read_b32 v189, a106                              // 00000000E7A0: D3D840BD 1800016A
	v_cndmask_b32_e32 v189, 0, v189, vcc                       // 00000000E7A8: 017B7A80
	v_and_b32_e32 v189, v189, v188                             // 00000000E7AC: 277B79BD
	v_accvgpr_write_b32 a106, v189                             // 00000000E7B0: D3D9406A 180001BD
	v_accvgpr_read_b32 v189, a122                              // 00000000E7B8: D3D840BD 1800017A
	v_cndmask_b32_e32 v189, 0, v189, vcc                       // 00000000E7C0: 017B7A80
	v_and_b32_e32 v189, v189, v188                             // 00000000E7C4: 277B79BD
	v_accvgpr_write_b32 a122, v189                             // 00000000E7C8: D3D9407A 180001BD
	s_mov_b32 s54, 0x8c                                        // 00000000E7D0: BEB600FF 0000008C
	v_add_i32 v187, s54, v186                                  // 00000000E7D8: D29C00BB 00037436
	v_cmp_lt_i32_e64 vcc, v187, 4                              // 00000000E7E0: D0C1006A 000109BB
	v_min_u32_e32 v187, 4, v187                                // 00000000E7E8: 1D777684
	v_lshlrev_b32_e32 v187, 3, v187                            // 00000000E7EC: 25777683
	v_lshrrev_b32_e64 v188, v187, -1                           // 00000000E7F0: D11000BC 000183BB
	v_accvgpr_read_b32 v189, a107                              // 00000000E7F8: D3D840BD 1800016B
	v_cndmask_b32_e32 v189, 0, v189, vcc                       // 00000000E800: 017B7A80
	v_and_b32_e32 v189, v189, v188                             // 00000000E804: 277B79BD
	v_accvgpr_write_b32 a107, v189                             // 00000000E808: D3D9406B 180001BD
	v_accvgpr_read_b32 v189, a123                              // 00000000E810: D3D840BD 1800017B
	v_cndmask_b32_e32 v189, 0, v189, vcc                       // 00000000E818: 017B7A80
	v_and_b32_e32 v189, v189, v188                             // 00000000E81C: 277B79BD
	v_accvgpr_write_b32 a123, v189                             // 00000000E820: D3D9407B 180001BD
	s_mov_b32 s54, 0xc0                                        // 00000000E828: BEB600FF 000000C0
	v_add_i32 v187, s54, v186                                  // 00000000E830: D29C00BB 00037436
	v_cmp_lt_i32_e64 vcc, v187, 4                              // 00000000E838: D0C1006A 000109BB
	v_min_u32_e32 v187, 4, v187                                // 00000000E840: 1D777684
	v_lshlrev_b32_e32 v187, 3, v187                            // 00000000E844: 25777683
	v_lshrrev_b32_e64 v188, v187, -1                           // 00000000E848: D11000BC 000183BB
	v_accvgpr_read_b32 v189, a108                              // 00000000E850: D3D840BD 1800016C
	v_cndmask_b32_e32 v189, 0, v189, vcc                       // 00000000E858: 017B7A80
	v_and_b32_e32 v189, v189, v188                             // 00000000E85C: 277B79BD
	v_accvgpr_write_b32 a108, v189                             // 00000000E860: D3D9406C 180001BD
	v_accvgpr_read_b32 v189, a124                              // 00000000E868: D3D840BD 1800017C
	v_cndmask_b32_e32 v189, 0, v189, vcc                       // 00000000E870: 017B7A80
	v_and_b32_e32 v189, v189, v188                             // 00000000E874: 277B79BD
	v_accvgpr_write_b32 a124, v189                             // 00000000E878: D3D9407C 180001BD
	s_mov_b32 s54, 0xc4                                        // 00000000E880: BEB600FF 000000C4
	v_add_i32 v187, s54, v186                                  // 00000000E888: D29C00BB 00037436
	v_cmp_lt_i32_e64 vcc, v187, 4                              // 00000000E890: D0C1006A 000109BB
	v_min_u32_e32 v187, 4, v187                                // 00000000E898: 1D777684
	v_lshlrev_b32_e32 v187, 3, v187                            // 00000000E89C: 25777683
	v_lshrrev_b32_e64 v188, v187, -1                           // 00000000E8A0: D11000BC 000183BB
	v_accvgpr_read_b32 v189, a109                              // 00000000E8A8: D3D840BD 1800016D
	v_cndmask_b32_e32 v189, 0, v189, vcc                       // 00000000E8B0: 017B7A80
	v_and_b32_e32 v189, v189, v188                             // 00000000E8B4: 277B79BD
	v_accvgpr_write_b32 a109, v189                             // 00000000E8B8: D3D9406D 180001BD
	v_accvgpr_read_b32 v189, a125                              // 00000000E8C0: D3D840BD 1800017D
	v_cndmask_b32_e32 v189, 0, v189, vcc                       // 00000000E8C8: 017B7A80
	v_and_b32_e32 v189, v189, v188                             // 00000000E8CC: 277B79BD
	v_accvgpr_write_b32 a125, v189                             // 00000000E8D0: D3D9407D 180001BD
	s_mov_b32 s54, 0xc8                                        // 00000000E8D8: BEB600FF 000000C8
	v_add_i32 v187, s54, v186                                  // 00000000E8E0: D29C00BB 00037436
	v_cmp_lt_i32_e64 vcc, v187, 4                              // 00000000E8E8: D0C1006A 000109BB
	v_min_u32_e32 v187, 4, v187                                // 00000000E8F0: 1D777684
	v_lshlrev_b32_e32 v187, 3, v187                            // 00000000E8F4: 25777683
	v_lshrrev_b32_e64 v188, v187, -1                           // 00000000E8F8: D11000BC 000183BB
	v_accvgpr_read_b32 v189, a110                              // 00000000E900: D3D840BD 1800016E
	v_cndmask_b32_e32 v189, 0, v189, vcc                       // 00000000E908: 017B7A80
	v_and_b32_e32 v189, v189, v188                             // 00000000E90C: 277B79BD
	v_accvgpr_write_b32 a110, v189                             // 00000000E910: D3D9406E 180001BD
	v_accvgpr_read_b32 v189, a126                              // 00000000E918: D3D840BD 1800017E
	v_cndmask_b32_e32 v189, 0, v189, vcc                       // 00000000E920: 017B7A80
	v_and_b32_e32 v189, v189, v188                             // 00000000E924: 277B79BD
	v_accvgpr_write_b32 a126, v189                             // 00000000E928: D3D9407E 180001BD
	s_mov_b32 s54, 0xcc                                        // 00000000E930: BEB600FF 000000CC
	v_add_i32 v187, s54, v186                                  // 00000000E938: D29C00BB 00037436
	v_cmp_lt_i32_e64 vcc, v187, 4                              // 00000000E940: D0C1006A 000109BB
	v_min_u32_e32 v187, 4, v187                                // 00000000E948: 1D777684
	v_lshlrev_b32_e32 v187, 3, v187                            // 00000000E94C: 25777683
	v_lshrrev_b32_e64 v188, v187, -1                           // 00000000E950: D11000BC 000183BB
	v_accvgpr_read_b32 v189, a111                              // 00000000E958: D3D840BD 1800016F
	v_cndmask_b32_e32 v189, 0, v189, vcc                       // 00000000E960: 017B7A80
	v_and_b32_e32 v189, v189, v188                             // 00000000E964: 277B79BD
	v_accvgpr_write_b32 a111, v189                             // 00000000E968: D3D9406F 180001BD
	v_accvgpr_read_b32 v189, a127                              // 00000000E970: D3D840BD 1800017F
	v_cndmask_b32_e32 v189, 0, v189, vcc                       // 00000000E978: 017B7A80
	v_and_b32_e32 v189, v189, v188                             // 00000000E97C: 277B79BD
	v_accvgpr_write_b32 a127, v189                             // 00000000E980: D3D9407F 180001BD
	s_waitcnt lgkmcnt(7)                                       // 00000000E988: BF8CC77F
	v_mfma_f32_16x16x32_fp8_fp8 v[92:95], a[96:97], v[28:29], 0// 00000000E98C: D3F3005C 0A023960
	v_mfma_f32_16x16x32_fp8_fp8 v[96:99], a[112:113], v[28:29], 0// 00000000E994: D3F30060 0A023970
	v_mfma_f32_16x16x32_fp8_fp8 v[92:95], a[98:99], v[30:31], v[92:95]// 00000000E99C: D3F3005C 0D723D62
	buffer_load_dwordx4 a[64:67], v204, s[16:19], 0 offen      // 00000000E9A4: E05C1000 808440CC
	v_mfma_f32_16x16x32_fp8_fp8 v[96:99], a[114:115], v[30:31], v[96:99]// 00000000E9AC: D3F30060 0D823D72
	s_waitcnt lgkmcnt(6)                                       // 00000000E9B4: BF8CC67F
	v_mfma_f32_16x16x32_fp8_fp8 v[92:95], a[100:101], v[32:33], v[92:95]// 00000000E9B8: D3F3005C 0D724164
	v_mfma_f32_16x16x32_fp8_fp8 v[96:99], a[116:117], v[32:33], v[96:99]// 00000000E9C0: D3F30060 0D824174
	v_mfma_f32_16x16x32_fp8_fp8 v[92:95], a[102:103], v[34:35], v[92:95]// 00000000E9C8: D3F3005C 0D724566
	buffer_load_dwordx4 a[68:71], v205, s[16:19], 0 offen      // 00000000E9D0: E05C1000 808444CD
	v_mfma_f32_16x16x32_fp8_fp8 v[96:99], a[118:119], v[34:35], v[96:99]// 00000000E9D8: D3F30060 0D824576
	s_waitcnt lgkmcnt(5)                                       // 00000000E9E0: BF8CC57F
	v_mfma_f32_16x16x32_fp8_fp8 v[92:95], a[104:105], v[36:37], v[92:95]// 00000000E9E4: D3F3005C 0D724968
	v_mfma_f32_16x16x32_fp8_fp8 v[96:99], a[120:121], v[36:37], v[96:99]// 00000000E9EC: D3F30060 0D824978
	v_mfma_f32_16x16x32_fp8_fp8 v[92:95], a[106:107], v[38:39], v[92:95]// 00000000E9F4: D3F3005C 0D724D6A
	buffer_load_dwordx4 a[72:75], v206, s[16:19], 0 offen      // 00000000E9FC: E05C1000 808448CE
	v_mfma_f32_16x16x32_fp8_fp8 v[96:99], a[122:123], v[38:39], v[96:99]// 00000000EA04: D3F30060 0D824D7A
	s_waitcnt lgkmcnt(4)                                       // 00000000EA0C: BF8CC47F
	v_mfma_f32_16x16x32_fp8_fp8 v[92:95], a[108:109], v[40:41], v[92:95]// 00000000EA10: D3F3005C 0D72516C
	v_mfma_f32_16x16x32_fp8_fp8 v[96:99], a[124:125], v[40:41], v[96:99]// 00000000EA18: D3F30060 0D82517C
	v_mfma_f32_16x16x32_fp8_fp8 v[92:95], a[110:111], v[42:43], v[92:95]// 00000000EA20: D3F3005C 0D72556E
	buffer_load_dwordx4 a[76:79], v207, s[16:19], 0 offen      // 00000000EA28: E05C1000 80844CCF
	v_mfma_f32_16x16x32_fp8_fp8 v[96:99], a[126:127], v[42:43], v[96:99]// 00000000EA30: D3F30060 0D82557E
	s_waitcnt lgkmcnt(3)                                       // 00000000EA38: BF8CC37F
	v_mfma_f32_16x16x32_fp8_fp8 v[100:103], a[96:97], v[44:45], 0// 00000000EA3C: D3F30064 0A025960
	v_mfma_f32_16x16x32_fp8_fp8 v[104:107], a[112:113], v[44:45], 0// 00000000EA44: D3F30068 0A025970
	v_mfma_f32_16x16x32_fp8_fp8 v[100:103], a[98:99], v[46:47], v[100:103]// 00000000EA4C: D3F30064 0D925D62
	buffer_load_dwordx4 a[80:83], v204, s[16:19], 0 offen offset:1024// 00000000EA54: E05C1400 808450CC
	v_mfma_f32_16x16x32_fp8_fp8 v[104:107], a[114:115], v[46:47], v[104:107]// 00000000EA5C: D3F30068 0DA25D72
	s_waitcnt lgkmcnt(2)                                       // 00000000EA64: BF8CC27F
	v_mfma_f32_16x16x32_fp8_fp8 v[100:103], a[100:101], v[48:49], v[100:103]// 00000000EA68: D3F30064 0D926164
	v_mfma_f32_16x16x32_fp8_fp8 v[104:107], a[116:117], v[48:49], v[104:107]// 00000000EA70: D3F30068 0DA26174
	v_mfma_f32_16x16x32_fp8_fp8 v[100:103], a[102:103], v[50:51], v[100:103]// 00000000EA78: D3F30064 0D926566
	buffer_load_dwordx4 a[84:87], v205, s[16:19], 0 offen offset:1024// 00000000EA80: E05C1400 808454CD
	v_mfma_f32_16x16x32_fp8_fp8 v[104:107], a[118:119], v[50:51], v[104:107]// 00000000EA88: D3F30068 0DA26576
	s_waitcnt lgkmcnt(1)                                       // 00000000EA90: BF8CC17F
	v_mfma_f32_16x16x32_fp8_fp8 v[100:103], a[104:105], v[52:53], v[100:103]// 00000000EA94: D3F30064 0D926968
	v_mfma_f32_16x16x32_fp8_fp8 v[104:107], a[120:121], v[52:53], v[104:107]// 00000000EA9C: D3F30068 0DA26978
	v_mfma_f32_16x16x32_fp8_fp8 v[100:103], a[106:107], v[54:55], v[100:103]// 00000000EAA4: D3F30064 0D926D6A
	buffer_load_dwordx4 a[88:91], v206, s[16:19], 0 offen offset:1024// 00000000EAAC: E05C1400 808458CE
	v_mfma_f32_16x16x32_fp8_fp8 v[104:107], a[122:123], v[54:55], v[104:107]// 00000000EAB4: D3F30068 0DA26D7A
	s_waitcnt lgkmcnt(0)                                       // 00000000EABC: BF8CC07F
	v_mfma_f32_16x16x32_fp8_fp8 v[100:103], a[108:109], v[56:57], v[100:103]// 00000000EAC0: D3F30064 0D92716C
	v_mfma_f32_16x16x32_fp8_fp8 v[104:107], a[124:125], v[56:57], v[104:107]// 00000000EAC8: D3F30068 0DA2717C
	v_mfma_f32_16x16x32_fp8_fp8 v[100:103], a[110:111], v[58:59], v[100:103]// 00000000EAD0: D3F30064 0D92756E
	buffer_load_dwordx4 a[92:95], v207, s[16:19], 0 offen offset:1024// 00000000EAD8: E05C1400 80845CCF
	v_mfma_f32_16x16x32_fp8_fp8 v[104:107], a[126:127], v[58:59], v[104:107]// 00000000EAE0: D3F30068 0DA2757E
	s_addk_i32 s64, 0x100                                      // 00000000EAE8: B7400100
	s_branch label_1B16                                        // 00000000EAEC: BF82E9DA

000000000000eaf0 <label_313C>:
	v_mov_b32_e32 v147, v148                                   // 00000000EAF0: 7F260394
	ds_write_b64 v220, v[146:147]                              // 00000000EAF4: D89A0000 000092DC
	v_pk_mul_f32 v[108:109], v[142:143], v[108:109]            // 00000000EAFC: D3B1406C 1802D98E
	v_pk_mul_f32 v[110:111], v[142:143], v[110:111]            // 00000000EB04: D3B1406E 1802DD8E
	v_pk_mul_f32 v[112:113], v[142:143], v[112:113]            // 00000000EB0C: D3B14070 1802E18E
	v_pk_mul_f32 v[114:115], v[142:143], v[114:115]            // 00000000EB14: D3B14072 1802E58E
	v_pk_mul_f32 v[116:117], v[144:145], v[116:117]            // 00000000EB1C: D3B14074 1802E990
	v_pk_mul_f32 v[118:119], v[144:145], v[118:119]            // 00000000EB24: D3B14076 1802ED90
	v_pk_mul_f32 v[120:121], v[144:145], v[120:121]            // 00000000EB2C: D3B14078 1802F190
	v_pk_mul_f32 v[122:123], v[144:145], v[122:123]            // 00000000EB34: D3B1407A 1802F590
	s_waitcnt lgkmcnt(0)                                       // 00000000EB3C: BF8CC07F
	s_barrier                                                  // 00000000EB40: BF8A0000
	ds_read_b64 v[154:155], v221                               // 00000000EB44: D8EC0000 9A0000DD
	ds_read_b64 v[156:157], v221 offset:128                    // 00000000EB4C: D8EC0080 9C0000DD
	ds_read_b64 v[158:159], v221 offset:256                    // 00000000EB54: D8EC0100 9E0000DD
	ds_read_b64 v[160:161], v221 offset:384                    // 00000000EB5C: D8EC0180 A00000DD
	ds_read_b64 v[162:163], v221 offset:512                    // 00000000EB64: D8EC0200 A20000DD
	ds_read_b64 v[164:165], v221 offset:640                    // 00000000EB6C: D8EC0280 A40000DD
	ds_read_b64 v[166:167], v221 offset:768                    // 00000000EB74: D8EC0300 A60000DD
	ds_read_b64 v[168:169], v221 offset:896                    // 00000000EB7C: D8EC0380 A80000DD
	ds_read_b64 v[170:171], v221 offset:1024                   // 00000000EB84: D8EC0400 AA0000DD
	ds_read_b64 v[172:173], v221 offset:1152                   // 00000000EB8C: D8EC0480 AC0000DD
	ds_read_b64 v[174:175], v221 offset:1280                   // 00000000EB94: D8EC0500 AE0000DD
	ds_read_b64 v[176:177], v221 offset:1408                   // 00000000EB9C: D8EC0580 B00000DD
	ds_read_b64 v[178:179], v221 offset:1536                   // 00000000EBA4: D8EC0600 B20000DD
	ds_read_b64 v[180:181], v221 offset:1664                   // 00000000EBAC: D8EC0680 B40000DD
	ds_read_b64 v[182:183], v221 offset:1792                   // 00000000EBB4: D8EC0700 B60000DD
	ds_read_b64 v[184:185], v221 offset:1920                   // 00000000EBBC: D8EC0780 B80000DD
	v_pk_mul_f32 v[92:93], v[132:133], v[92:93]                // 00000000EBC4: D3B1405C 1802B984
	v_pk_mul_f32 v[94:95], v[132:133], v[94:95]                // 00000000EBCC: D3B1405E 1802BD84
	v_pk_mul_f32 v[96:97], v[132:133], v[96:97]                // 00000000EBD4: D3B14060 1802C184
	v_pk_mul_f32 v[98:99], v[132:133], v[98:99]                // 00000000EBDC: D3B14062 1802C584
	v_pk_mul_f32 v[100:101], v[134:135], v[100:101]            // 00000000EBE4: D3B14064 1802C986
	v_pk_mul_f32 v[102:103], v[134:135], v[102:103]            // 00000000EBEC: D3B14066 1802CD86
	v_pk_mul_f32 v[104:105], v[134:135], v[104:105]            // 00000000EBF4: D3B14068 1802D186
	v_pk_mul_f32 v[106:107], v[134:135], v[106:107]            // 00000000EBFC: D3B1406A 1802D586
	v_pk_add_f32 v[108:109], v[108:109], v[92:93]              // 00000000EC04: D3B2406C 1802B96C
	v_pk_add_f32 v[110:111], v[110:111], v[94:95]              // 00000000EC0C: D3B2406E 1802BD6E
	v_pk_add_f32 v[112:113], v[112:113], v[96:97]              // 00000000EC14: D3B24070 1802C170
	v_pk_add_f32 v[114:115], v[114:115], v[98:99]              // 00000000EC1C: D3B24072 1802C572
	v_pk_add_f32 v[116:117], v[116:117], v[100:101]            // 00000000EC24: D3B24074 1802C974
	v_pk_add_f32 v[118:119], v[118:119], v[102:103]            // 00000000EC2C: D3B24076 1802CD76
	v_pk_add_f32 v[120:121], v[120:121], v[104:105]            // 00000000EC34: D3B24078 1802D178
	v_pk_add_f32 v[122:123], v[122:123], v[106:107]            // 00000000EC3C: D3B2407A 1802D57A
	s_waitcnt lgkmcnt(0)                                       // 00000000EC44: BF8CC07F
	v_mov_b64_e32 v[146:147], 0                                // 00000000EC48: 7F247080
	v_pk_add_f32 v[146:147], v[154:155], v[146:147]            // 00000000EC4C: D3B24092 1803259A
	v_pk_add_f32 v[146:147], v[156:157], v[146:147]            // 00000000EC54: D3B24092 1803259C
	v_pk_add_f32 v[146:147], v[158:159], v[146:147]            // 00000000EC5C: D3B24092 1803259E
	v_pk_add_f32 v[146:147], v[160:161], v[146:147]            // 00000000EC64: D3B24092 180325A0
	v_pk_add_f32 v[146:147], v[162:163], v[146:147]            // 00000000EC6C: D3B24092 180325A2
	v_pk_add_f32 v[146:147], v[164:165], v[146:147]            // 00000000EC74: D3B24092 180325A4
	v_pk_add_f32 v[146:147], v[166:167], v[146:147]            // 00000000EC7C: D3B24092 180325A6
	v_pk_add_f32 v[146:147], v[168:169], v[146:147]            // 00000000EC84: D3B24092 180325A8
	v_pk_add_f32 v[146:147], v[170:171], v[146:147]            // 00000000EC8C: D3B24092 180325AA
	v_pk_add_f32 v[146:147], v[172:173], v[146:147]            // 00000000EC94: D3B24092 180325AC
	v_pk_add_f32 v[146:147], v[174:175], v[146:147]            // 00000000EC9C: D3B24092 180325AE
	v_pk_add_f32 v[146:147], v[176:177], v[146:147]            // 00000000ECA4: D3B24092 180325B0
	v_pk_add_f32 v[146:147], v[178:179], v[146:147]            // 00000000ECAC: D3B24092 180325B2
	v_pk_add_f32 v[146:147], v[180:181], v[146:147]            // 00000000ECB4: D3B24092 180325B4
	v_pk_add_f32 v[146:147], v[182:183], v[146:147]            // 00000000ECBC: D3B24092 180325B6
	v_pk_add_f32 v[146:147], v[184:185], v[146:147]            // 00000000ECC4: D3B24092 180325B8
	v_rcp_f32_e32 v154, v146                                   // 00000000ECCC: 7F344592
	v_cmp_eq_u32_e64 s[54:55], 0, v146                         // 00000000ECD0: D0CA0036 00032480
	s_nop 0                                                    // 00000000ECD8: BF800000
	v_cndmask_b32_e64 v154, v154, 0, s[54:55]                  // 00000000ECDC: D100009A 00D9019A
	v_rcp_f32_e32 v155, v147                                   // 00000000ECE4: 7F364593
	v_cmp_eq_u32_e64 s[54:55], 0, v147                         // 00000000ECE8: D0CA0036 00032680
	s_nop 0                                                    // 00000000ECF0: BF800000
	v_cndmask_b32_e64 v155, v155, 0, s[54:55]                  // 00000000ECF4: D100009B 00D9019B
	v_mov_b32_e32 v156, v155                                   // 00000000ECFC: 7F38039B
	v_mov_b32_e32 v157, v155                                   // 00000000ED00: 7F3A039B
	v_mov_b32_e32 v155, v154                                   // 00000000ED04: 7F36039A
	v_pk_mul_f32 v[108:109], v[154:155], v[108:109]            // 00000000ED08: D3B1406C 1802D99A
	v_pk_mul_f32 v[110:111], v[154:155], v[110:111]            // 00000000ED10: D3B1406E 1802DD9A
	v_pk_mul_f32 v[112:113], v[154:155], v[112:113]            // 00000000ED18: D3B14070 1802E19A
	v_pk_mul_f32 v[114:115], v[154:155], v[114:115]            // 00000000ED20: D3B14072 1802E59A
	v_pk_mul_f32 v[116:117], v[156:157], v[116:117]            // 00000000ED28: D3B14074 1802E99C
	v_pk_mul_f32 v[118:119], v[156:157], v[118:119]            // 00000000ED30: D3B14076 1802ED9C
	v_pk_mul_f32 v[120:121], v[156:157], v[120:121]            // 00000000ED38: D3B14078 1802F19C
	v_pk_mul_f32 v[122:123], v[156:157], v[122:123]            // 00000000ED40: D3B1407A 1802F59C
	s_cmp_eq_i32 s73, -1                                       // 00000000ED48: BF00C149
	s_cbranch_scc0 label_3259                                  // 00000000ED4C: BF840085
	v_cmp_u_f32_e64 s[98:99], v108, v108                       // 00000000ED50: D0480062 0002D96C
	v_add3_u32 v190, v108, v193, 1                             // 00000000ED58: D1FF00BE 0207836C
	v_cndmask_b32_e64 v186, v190, v192, s[98:99]               // 00000000ED60: D10000BA 018B81BE
	v_cmp_u_f32_e64 s[98:99], v109, v109                       // 00000000ED68: D0480062 0002DB6D
	v_add3_u32 v190, v109, v193, 1                             // 00000000ED70: D1FF00BE 0207836D
	v_cndmask_b32_e64 v187, v190, v192, s[98:99]               // 00000000ED78: D10000BB 018B81BE
	v_perm_b32 v108, v187, v186, s56                           // 00000000ED80: D1ED006C 00E375BB
	v_cmp_u_f32_e64 s[98:99], v110, v110                       // 00000000ED88: D0480062 0002DD6E
	v_add3_u32 v190, v110, v193, 1                             // 00000000ED90: D1FF00BE 0207836E
	v_cndmask_b32_e64 v186, v190, v192, s[98:99]               // 00000000ED98: D10000BA 018B81BE
	v_cmp_u_f32_e64 s[98:99], v111, v111                       // 00000000EDA0: D0480062 0002DF6F
	v_add3_u32 v190, v111, v193, 1                             // 00000000EDA8: D1FF00BE 0207836F
	v_cndmask_b32_e64 v187, v190, v192, s[98:99]               // 00000000EDB0: D10000BB 018B81BE
	v_perm_b32 v109, v187, v186, s56                           // 00000000EDB8: D1ED006D 00E375BB
	v_cmp_u_f32_e64 s[98:99], v112, v112                       // 00000000EDC0: D0480062 0002E170
	v_add3_u32 v190, v112, v193, 1                             // 00000000EDC8: D1FF00BE 02078370
	v_cndmask_b32_e64 v186, v190, v192, s[98:99]               // 00000000EDD0: D10000BA 018B81BE
	v_cmp_u_f32_e64 s[98:99], v113, v113                       // 00000000EDD8: D0480062 0002E371
	v_add3_u32 v190, v113, v193, 1                             // 00000000EDE0: D1FF00BE 02078371
	v_cndmask_b32_e64 v187, v190, v192, s[98:99]               // 00000000EDE8: D10000BB 018B81BE
	v_perm_b32 v110, v187, v186, s56                           // 00000000EDF0: D1ED006E 00E375BB
	v_cmp_u_f32_e64 s[98:99], v114, v114                       // 00000000EDF8: D0480062 0002E572
	v_add3_u32 v190, v114, v193, 1                             // 00000000EE00: D1FF00BE 02078372
	v_cndmask_b32_e64 v186, v190, v192, s[98:99]               // 00000000EE08: D10000BA 018B81BE
	v_cmp_u_f32_e64 s[98:99], v115, v115                       // 00000000EE10: D0480062 0002E773
	v_add3_u32 v190, v115, v193, 1                             // 00000000EE18: D1FF00BE 02078373
	v_cndmask_b32_e64 v187, v190, v192, s[98:99]               // 00000000EE20: D10000BB 018B81BE
	v_perm_b32 v111, v187, v186, s56                           // 00000000EE28: D1ED006F 00E375BB
	v_cmp_u_f32_e64 s[98:99], v116, v116                       // 00000000EE30: D0480062 0002E974
	v_add3_u32 v190, v116, v193, 1                             // 00000000EE38: D1FF00BE 02078374
	v_cndmask_b32_e64 v186, v190, v192, s[98:99]               // 00000000EE40: D10000BA 018B81BE
	v_cmp_u_f32_e64 s[98:99], v117, v117                       // 00000000EE48: D0480062 0002EB75
	v_add3_u32 v190, v117, v193, 1                             // 00000000EE50: D1FF00BE 02078375
	v_cndmask_b32_e64 v187, v190, v192, s[98:99]               // 00000000EE58: D10000BB 018B81BE
	v_perm_b32 v112, v187, v186, s56                           // 00000000EE60: D1ED0070 00E375BB
	v_cmp_u_f32_e64 s[98:99], v118, v118                       // 00000000EE68: D0480062 0002ED76
	v_add3_u32 v190, v118, v193, 1                             // 00000000EE70: D1FF00BE 02078376
	v_cndmask_b32_e64 v186, v190, v192, s[98:99]               // 00000000EE78: D10000BA 018B81BE
	v_cmp_u_f32_e64 s[98:99], v119, v119                       // 00000000EE80: D0480062 0002EF77
	v_add3_u32 v190, v119, v193, 1                             // 00000000EE88: D1FF00BE 02078377
	v_cndmask_b32_e64 v187, v190, v192, s[98:99]               // 00000000EE90: D10000BB 018B81BE
	v_perm_b32 v113, v187, v186, s56                           // 00000000EE98: D1ED0071 00E375BB
	v_cmp_u_f32_e64 s[98:99], v120, v120                       // 00000000EEA0: D0480062 0002F178
	v_add3_u32 v190, v120, v193, 1                             // 00000000EEA8: D1FF00BE 02078378
	v_cndmask_b32_e64 v186, v190, v192, s[98:99]               // 00000000EEB0: D10000BA 018B81BE
	v_cmp_u_f32_e64 s[98:99], v121, v121                       // 00000000EEB8: D0480062 0002F379
	v_add3_u32 v190, v121, v193, 1                             // 00000000EEC0: D1FF00BE 02078379
	v_cndmask_b32_e64 v187, v190, v192, s[98:99]               // 00000000EEC8: D10000BB 018B81BE
	v_perm_b32 v114, v187, v186, s56                           // 00000000EED0: D1ED0072 00E375BB
	v_cmp_u_f32_e64 s[98:99], v122, v122                       // 00000000EED8: D0480062 0002F57A
	v_add3_u32 v190, v122, v193, 1                             // 00000000EEE0: D1FF00BE 0207837A
	v_cndmask_b32_e64 v186, v190, v192, s[98:99]               // 00000000EEE8: D10000BA 018B81BE
	v_cmp_u_f32_e64 s[98:99], v123, v123                       // 00000000EEF0: D0480062 0002F77B
	v_add3_u32 v190, v123, v193, 1                             // 00000000EEF8: D1FF00BE 0207837B
	v_cndmask_b32_e64 v187, v190, v192, s[98:99]               // 00000000EF00: D10000BB 018B81BE
	v_perm_b32 v115, v187, v186, s56                           // 00000000EF08: D1ED0073 00E375BB
	ds_write_b64 v218, v[108:109] offset:4608                  // 00000000EF10: D89A1200 00006CDA
	ds_write_b64 v218, v[110:111] offset:6912                  // 00000000EF18: D89A1B00 00006EDA
	ds_write_b64 v218, v[112:113] offset:9216                  // 00000000EF20: D89A2400 000070DA
	ds_write_b64 v218, v[114:115] offset:11520                 // 00000000EF28: D89A2D00 000072DA
	s_waitcnt lgkmcnt(0)                                       // 00000000EF30: BF8CC07F
	s_barrier                                                  // 00000000EF34: BF8A0000
	ds_read_b128 v[108:111], v219 offset:4608                  // 00000000EF38: D9FE1200 6C0000DB
	ds_read_b128 v[112:115], v219 offset:9216                  // 00000000EF40: D9FE2400 700000DB
	s_waitcnt lgkmcnt(1)                                       // 00000000EF48: BF8CC17F
	buffer_store_dwordx4 v[108:111], v200, s[4:7], 0 offen     // 00000000EF4C: E07C1000 80016CC8
	s_waitcnt lgkmcnt(0)                                       // 00000000EF54: BF8CC07F
	buffer_store_dwordx4 v[112:115], v201, s[4:7], 0 offen     // 00000000EF58: E07C1000 800170C9
	s_branch label_3277                                        // 00000000EF60: BF82001E

000000000000ef64 <label_3259>:
	v_rcp_f32_e32 v189, 0x3fb8aa3b                             // 00000000EF64: 7F7A44FF 3FB8AA3B
	v_log_f32_e32 v186, v146                                   // 00000000EF6C: 7F744392
	v_mul_f32_e64 v187, v138, s46                              // 00000000EF70: D10500BB 00005D8A
	v_add_f32_e32 v136, v186, v187                             // 00000000EF78: 031177BA
	v_mul_f32_e32 v136, v136, v189                             // 00000000EF7C: 0B117B88
	buffer_store_dword v136, v210, s[32:35], 0 offen           // 00000000EF80: E0701000 800888D2
	v_log_f32_e32 v186, v147                                   // 00000000EF88: 7F744393
	v_mul_f32_e64 v187, v139, s46                              // 00000000EF8C: D10500BB 00005D8B
	v_add_f32_e32 v137, v186, v187                             // 00000000EF94: 031377BA
	v_mul_f32_e32 v137, v137, v189                             // 00000000EF98: 0B137B89
	buffer_store_dword v137, v211, s[32:35], 0 offen           // 00000000EF9C: E0701000 800889D3
	v_add_u32_e32 v186, 0, v212                                // 00000000EFA4: 6975A880
	buffer_store_dwordx4 v[108:111], v186, s[28:31], 0 offen   // 00000000EFA8: E07C1000 80076CBA
	v_add_u32_e32 v186, 0x100, v212                            // 00000000EFB0: 6975A8FF 00000100
	buffer_store_dwordx4 v[112:115], v186, s[28:31], 0 offen   // 00000000EFB8: E07C1000 800770BA
	v_add_u32_e32 v186, 0, v213                                // 00000000EFC0: 6975AA80
	buffer_store_dwordx4 v[116:119], v186, s[28:31], 0 offen   // 00000000EFC4: E07C1000 800774BA
	v_add_u32_e32 v186, 0x100, v213                            // 00000000EFCC: 6975AAFF 00000100
	buffer_store_dwordx4 v[120:123], v186, s[28:31], 0 offen   // 00000000EFD4: E07C1000 800778BA

000000000000efdc <label_3277>:
	s_addk_i32 s80, 0x1                                        // 00000000EFDC: B7500001
	s_branch label_01A1                                        // 00000000EFE0: BF82CF28

000000000000efe4 <label_3279>:
	s_waitcnt vmcnt(0) expcnt(0) lgkmcnt(0)                    // 00000000EFE4: BF8C0000
	s_endpgm                                                   // 00000000EFE8: BF810000
